;; amdgpu-corpus repo=ROCm/rocFFT kind=compiled arch=gfx1100 opt=O3
	.text
	.amdgcn_target "amdgcn-amd-amdhsa--gfx1100"
	.amdhsa_code_object_version 6
	.protected	bluestein_single_back_len3000_dim1_dp_op_CI_CI ; -- Begin function bluestein_single_back_len3000_dim1_dp_op_CI_CI
	.globl	bluestein_single_back_len3000_dim1_dp_op_CI_CI
	.p2align	8
	.type	bluestein_single_back_len3000_dim1_dp_op_CI_CI,@function
bluestein_single_back_len3000_dim1_dp_op_CI_CI: ; @bluestein_single_back_len3000_dim1_dp_op_CI_CI
; %bb.0:
	s_load_b128 s[16:19], s[0:1], 0x28
	v_mul_u32_u24_e32 v1, 0x290, v0
	s_mov_b32 s2, exec_lo
	v_mov_b32_e32 v3, 0
	s_delay_alu instid0(VALU_DEP_2) | instskip(NEXT) | instid1(VALU_DEP_1)
	v_lshrrev_b32_e32 v1, 16, v1
	v_add_nc_u32_e32 v2, s15, v1
	s_waitcnt lgkmcnt(0)
	s_delay_alu instid0(VALU_DEP_1)
	v_cmpx_gt_u64_e64 s[16:17], v[2:3]
	s_cbranch_execz .LBB0_2
; %bb.1:
	s_clause 0x1
	s_load_b128 s[4:7], s[0:1], 0x18
	s_load_b128 s[8:11], s[0:1], 0x0
	v_mul_lo_u16 v1, 0x64, v1
	s_mov_b32 s16, 0x372fe950
	s_mov_b32 s17, 0x3fd3c6ef
	;; [unrolled: 1-line block ×4, first 2 shown]
	v_sub_nc_u16 v131, v0, v1
	s_mov_b32 s22, s16
	s_mov_b32 s24, 0xe8584caa
	;; [unrolled: 1-line block ×4, first 2 shown]
	v_and_b32_e32 v4, 0xffff, v131
	v_mov_b32_e32 v6, v2
	s_mov_b32 s26, s24
	s_load_b64 s[0:1], s[0:1], 0x38
	scratch_store_b64 off, v[6:7], off      ; 8-byte Folded Spill
	v_mov_b32_e32 v7, v4
	s_waitcnt lgkmcnt(0)
	s_load_b128 s[12:15], s[4:5], 0x0
	s_delay_alu instid0(VALU_DEP_1) | instskip(NEXT) | instid1(VALU_DEP_1)
	v_lshlrev_b32_e32 v124, 4, v7
	v_add_co_u32 v125, s2, s8, v124
	s_delay_alu instid0(VALU_DEP_1) | instskip(NEXT) | instid1(VALU_DEP_2)
	v_add_co_ci_u32_e64 v130, null, s9, 0, s2
	v_add_co_u32 v48, s2, 0x2000, v125
	s_waitcnt lgkmcnt(0)
	v_mad_u64_u32 v[0:1], null, s14, v2, 0
	v_mad_u64_u32 v[2:3], null, s12, v4, 0
	s_mul_i32 s3, s13, 0x12c0
	s_mul_hi_u32 s5, s12, 0x12c0
	s_mul_i32 s4, s12, 0x12c0
	s_add_i32 s3, s5, s3
	s_delay_alu instid0(VALU_DEP_1) | instskip(SKIP_1) | instid1(VALU_DEP_1)
	v_mad_u64_u32 v[4:5], null, s15, v6, v[1:2]
	s_mov_b32 s15, 0xbfee6f0e
	v_mad_u64_u32 v[5:6], null, s13, v7, v[3:4]
	v_mov_b32_e32 v1, v4
	s_delay_alu instid0(VALU_DEP_1) | instskip(NEXT) | instid1(VALU_DEP_3)
	v_lshlrev_b64 v[0:1], 4, v[0:1]
	v_mov_b32_e32 v3, v5
	s_delay_alu instid0(VALU_DEP_2) | instskip(NEXT) | instid1(VALU_DEP_2)
	v_add_co_u32 v0, vcc_lo, s18, v0
	v_lshlrev_b64 v[2:3], 4, v[2:3]
	s_delay_alu instid0(VALU_DEP_4) | instskip(SKIP_3) | instid1(VALU_DEP_2)
	v_add_co_ci_u32_e32 v1, vcc_lo, s19, v1, vcc_lo
	s_mov_b32 s18, 0x9b97f4a8
	s_mov_b32 s19, 0x3fe9e377
	;; [unrolled: 1-line block ×3, first 2 shown]
	v_add_co_u32 v0, vcc_lo, v0, v2
	v_add_co_ci_u32_e32 v1, vcc_lo, v1, v3, vcc_lo
	global_load_b128 v[58:61], v124, s[8:9]
	global_load_b128 v[12:15], v[0:1], off
	v_add_co_u32 v38, vcc_lo, 0x1000, v125
	v_add_co_ci_u32_e32 v39, vcc_lo, 0, v130, vcc_lo
	v_add_co_u32 v0, vcc_lo, v0, s4
	v_add_co_ci_u32_e32 v1, vcc_lo, s3, v1, vcc_lo
	v_add_co_ci_u32_e64 v49, vcc_lo, 0, v130, s2
	s_delay_alu instid0(VALU_DEP_3) | instskip(NEXT) | instid1(VALU_DEP_3)
	v_add_co_u32 v2, vcc_lo, v0, s4
	v_add_co_ci_u32_e32 v3, vcc_lo, s3, v1, vcc_lo
	global_load_b128 v[84:87], v[38:39], off offset:704
	global_load_b128 v[20:23], v[0:1], off
	global_load_b128 v[76:79], v[48:49], off offset:1408
	global_load_b128 v[16:19], v[2:3], off
	v_add_co_u32 v44, vcc_lo, 0x3000, v125
	v_add_co_u32 v40, s2, 0x4000, v125
	v_add_co_ci_u32_e32 v45, vcc_lo, 0, v130, vcc_lo
	v_add_co_ci_u32_e64 v41, vcc_lo, 0, v130, s2
	v_add_co_u32 v0, vcc_lo, v2, s4
	v_add_co_ci_u32_e32 v1, vcc_lo, s3, v3, vcc_lo
	global_load_b128 v[80:83], v[44:45], off offset:2112
	v_add_co_u32 v4, vcc_lo, v0, s4
	v_add_co_ci_u32_e32 v5, vcc_lo, s3, v1, vcc_lo
	global_load_b128 v[24:27], v[0:1], off
	global_load_b128 v[64:67], v[40:41], off offset:2816
	global_load_b128 v[0:3], v[4:5], off
	v_add_co_u32 v42, vcc_lo, 0x5000, v125
	v_add_co_u32 v36, s2, 0x7000, v125
	v_add_co_ci_u32_e32 v43, vcc_lo, 0, v130, vcc_lo
	v_add_co_ci_u32_e64 v37, vcc_lo, 0, v130, s2
	v_add_co_u32 v4, vcc_lo, v4, s4
	v_add_co_ci_u32_e32 v5, vcc_lo, s3, v5, vcc_lo
	global_load_b128 v[68:71], v[42:43], off offset:3520
	v_add_co_u32 v28, vcc_lo, v4, s4
	v_add_co_ci_u32_e32 v29, vcc_lo, s3, v5, vcc_lo
	;; [unrolled: 12-line block ×3, first 2 shown]
	global_load_b128 v[32:35], v[28:29], off
	global_load_b128 v[92:95], v[50:51], off offset:1536
	global_load_b128 v[28:31], v[52:53], off
	v_add_co_u32 v116, vcc_lo, 0xa000, v125
	v_add_co_ci_u32_e32 v117, vcc_lo, 0, v130, vcc_lo
	s_mul_i32 s2, s13, 0xffff5d80
	global_load_b128 v[106:109], v124, s[8:9] offset:3200
	s_sub_i32 s2, s2, s12
	s_waitcnt vmcnt(18)
	v_dual_mov_b32 v99, v61 :: v_dual_mov_b32 v98, v60
	s_waitcnt vmcnt(17)
	v_mul_f64 v[54:55], v[14:15], v[60:61]
	v_dual_mov_b32 v97, v59 :: v_dual_mov_b32 v96, v58
	v_mul_f64 v[56:57], v[12:13], v[60:61]
	scratch_store_b128 off, v[96:99], off offset:440 ; 16-byte Folded Spill
	global_load_b128 v[98:101], v[116:117], off offset:3840
	s_waitcnt vmcnt(16)
	v_mul_f64 v[58:59], v[22:23], v[86:87]
	v_mul_f64 v[60:61], v[20:21], v[86:87]
	s_waitcnt vmcnt(14)
	v_mul_f64 v[62:63], v[18:19], v[78:79]
	s_waitcnt vmcnt(11)
	scratch_store_b128 off, v[64:67], off offset:472 ; 16-byte Folded Spill
	v_fma_f64 v[12:13], v[12:13], v[96:97], v[54:55]
	v_mul_f64 v[54:55], v[16:17], v[78:79]
	v_fma_f64 v[14:15], v[14:15], v[96:97], -v[56:57]
	v_mul_f64 v[56:57], v[26:27], v[82:83]
	s_waitcnt vmcnt(9)
	scratch_store_b128 off, v[68:71], off offset:456 ; 16-byte Folded Spill
	v_fma_f64 v[20:21], v[20:21], v[84:85], v[58:59]
	v_mul_f64 v[58:59], v[24:25], v[82:83]
	v_fma_f64 v[22:23], v[22:23], v[84:85], -v[60:61]
	v_mul_f64 v[60:61], v[2:3], v[66:67]
	v_fma_f64 v[16:17], v[16:17], v[76:77], v[62:63]
	s_waitcnt vmcnt(8)
	v_mul_f64 v[62:63], v[6:7], v[70:71]
	s_waitcnt vmcnt(7)
	scratch_store_b128 off, v[72:75], off offset:392 ; 16-byte Folded Spill
	s_waitcnt vmcnt(5)
	scratch_store_b128 off, v[88:91], off offset:424 ; 16-byte Folded Spill
	v_fma_f64 v[18:19], v[18:19], v[76:77], -v[54:55]
	v_mul_f64 v[54:55], v[0:1], v[66:67]
	v_fma_f64 v[24:25], v[24:25], v[80:81], v[56:57]
	v_mul_f64 v[56:57], v[4:5], v[70:71]
	v_fma_f64 v[26:27], v[26:27], v[80:81], -v[58:59]
	v_mul_f64 v[58:59], v[10:11], v[74:75]
	v_fma_f64 v[0:1], v[0:1], v[64:65], v[60:61]
	s_waitcnt vmcnt(4)
	v_mul_f64 v[60:61], v[34:35], v[90:91]
	v_fma_f64 v[4:5], v[4:5], v[68:69], v[62:63]
	s_waitcnt vmcnt(2)
	v_mul_f64 v[62:63], v[30:31], v[94:95]
	v_fma_f64 v[2:3], v[2:3], v[64:65], -v[54:55]
	v_mul_f64 v[54:55], v[8:9], v[74:75]
	global_load_b128 v[64:67], v[116:117], off offset:2240
	v_fma_f64 v[6:7], v[6:7], v[68:69], -v[56:57]
	v_mul_f64 v[56:57], v[32:33], v[90:91]
	scratch_store_b128 off, v[92:95], off offset:248 ; 16-byte Folded Spill
	v_fma_f64 v[8:9], v[8:9], v[72:73], v[58:59]
	v_add_co_u32 v58, vcc_lo, v52, s4
	v_add_co_ci_u32_e32 v59, vcc_lo, s3, v53, vcc_lo
	v_fma_f64 v[32:33], v[32:33], v[88:89], v[60:61]
	v_fma_f64 v[10:11], v[10:11], v[72:73], -v[54:55]
	v_mul_f64 v[54:55], v[28:29], v[94:95]
	v_fma_f64 v[28:29], v[28:29], v[92:93], v[62:63]
	v_fma_f64 v[34:35], v[34:35], v[88:89], -v[56:57]
	global_load_b128 v[70:73], v[38:39], off offset:2304
	scratch_store_b128 off, v[76:79], off offset:328 ; 16-byte Folded Spill
	s_clause 0x1
	global_load_b128 v[76:79], v[44:45], off offset:3712
	global_load_b128 v[88:91], v[36:37], off offset:1728
	v_fma_f64 v[30:31], v[30:31], v[92:93], -v[54:55]
	global_load_b128 v[52:55], v[58:59], off
	global_load_b128 v[92:95], v[46:47], off offset:2432
	s_waitcnt vmcnt(6)
	scratch_store_b128 off, v[98:101], off offset:184 ; 16-byte Folded Spill
	s_waitcnt vmcnt(5)
	scratch_store_b128 off, v[64:67], off offset:264 ; 16-byte Folded Spill
	;; [unrolled: 2-line block ×4, first 2 shown]
	s_waitcnt vmcnt(1)
	v_mul_f64 v[60:61], v[52:53], v[66:67]
	v_mul_f64 v[56:57], v[54:55], v[66:67]
	global_load_b128 v[66:69], v124, s[8:9] offset:1600
	scratch_store_b128 off, v[80:83], off offset:280 ; 16-byte Folded Spill
	global_load_b128 v[80:83], v[42:43], off offset:320
	scratch_store_b128 off, v[76:79], off offset:376 ; 16-byte Folded Spill
	s_waitcnt vmcnt(2)
	scratch_store_b128 off, v[92:95], off offset:216 ; 16-byte Folded Spill
	v_fma_f64 v[54:55], v[54:55], v[64:65], -v[60:61]
	v_mad_u64_u32 v[60:61], null, 0xffff5d80, s12, v[58:59]
	v_fma_f64 v[52:53], v[52:53], v[64:65], v[56:57]
	s_delay_alu instid0(VALU_DEP_2)
	v_add_nc_u32_e32 v61, s2, v61
	global_load_b128 v[56:59], v[60:61], off
	s_waitcnt vmcnt(2)
	scratch_store_b128 off, v[66:69], off offset:296 ; 16-byte Folded Spill
	s_waitcnt vmcnt(1)
	scratch_store_b128 off, v[80:83], off offset:408 ; 16-byte Folded Spill
	s_waitcnt vmcnt(0)
	v_mul_f64 v[64:65], v[56:57], v[68:69]
	v_mul_f64 v[62:63], v[58:59], v[68:69]
	s_delay_alu instid0(VALU_DEP_2) | instskip(SKIP_2) | instid1(VALU_DEP_4)
	v_fma_f64 v[58:59], v[58:59], v[66:67], -v[64:65]
	v_add_co_u32 v64, vcc_lo, v60, s4
	v_add_co_ci_u32_e32 v65, vcc_lo, s3, v61, vcc_lo
	v_fma_f64 v[56:57], v[56:57], v[66:67], v[62:63]
	global_load_b128 v[60:63], v[64:65], off
	s_waitcnt vmcnt(0)
	v_mul_f64 v[68:69], v[60:61], v[72:73]
	v_mul_f64 v[66:67], v[62:63], v[72:73]
	global_load_b128 v[72:75], v[48:49], off offset:3008
	scratch_store_b128 off, v[84:87], off offset:360 ; 16-byte Folded Spill
	v_fma_f64 v[62:63], v[62:63], v[70:71], -v[68:69]
	v_add_co_u32 v68, vcc_lo, v64, s4
	v_add_co_ci_u32_e32 v69, vcc_lo, s3, v65, vcc_lo
	v_fma_f64 v[60:61], v[60:61], v[70:71], v[66:67]
	global_load_b128 v[64:67], v[68:69], off
	s_waitcnt vmcnt(1)
	scratch_store_b128 off, v[72:75], off offset:344 ; 16-byte Folded Spill
	s_waitcnt vmcnt(0)
	v_mul_f64 v[48:49], v[66:67], v[74:75]
	v_mul_f64 v[70:71], v[64:65], v[74:75]
	s_delay_alu instid0(VALU_DEP_2) | instskip(SKIP_2) | instid1(VALU_DEP_4)
	v_fma_f64 v[64:65], v[64:65], v[72:73], v[48:49]
	v_add_co_u32 v48, vcc_lo, v68, s4
	v_add_co_ci_u32_e32 v49, vcc_lo, s3, v69, vcc_lo
	v_fma_f64 v[66:67], v[66:67], v[72:73], -v[70:71]
	global_load_b128 v[68:71], v[48:49], off
	v_add_co_u32 v48, vcc_lo, v48, s4
	v_add_co_ci_u32_e32 v49, vcc_lo, s3, v49, vcc_lo
	s_waitcnt vmcnt(0)
	v_mul_f64 v[72:73], v[70:71], v[78:79]
	v_mul_f64 v[74:75], v[68:69], v[78:79]
	s_delay_alu instid0(VALU_DEP_2) | instskip(NEXT) | instid1(VALU_DEP_2)
	v_fma_f64 v[68:69], v[68:69], v[76:77], v[72:73]
	v_fma_f64 v[70:71], v[70:71], v[76:77], -v[74:75]
	global_load_b128 v[72:75], v[48:49], off
	v_add_co_u32 v48, vcc_lo, v48, s4
	v_add_co_ci_u32_e32 v49, vcc_lo, s3, v49, vcc_lo
	v_add_co_u32 v104, vcc_lo, 0x6000, v125
	v_add_co_ci_u32_e32 v105, vcc_lo, 0, v130, vcc_lo
	s_clause 0x1
	global_load_b128 v[84:87], v[104:105], off offset:1024
	global_load_b128 v[118:121], v[104:105], off offset:2624
	s_mov_b32 s9, 0xbfe2cf23
	scratch_store_b128 off, v[106:109], off offset:120 ; 16-byte Folded Spill
	s_waitcnt vmcnt(2)
	v_mul_f64 v[76:77], v[74:75], v[82:83]
	v_mul_f64 v[78:79], v[72:73], v[82:83]
	s_waitcnt vmcnt(1)
	scratch_store_b128 off, v[84:87], off offset:232 ; 16-byte Folded Spill
	s_waitcnt vmcnt(0)
	scratch_store_b128 off, v[118:121], off offset:40 ; 16-byte Folded Spill
	v_fma_f64 v[72:73], v[72:73], v[80:81], v[76:77]
	v_fma_f64 v[74:75], v[74:75], v[80:81], -v[78:79]
	global_load_b128 v[76:79], v[48:49], off
	v_add_co_u32 v48, vcc_lo, v48, s4
	v_add_co_ci_u32_e32 v49, vcc_lo, s3, v49, vcc_lo
	s_waitcnt vmcnt(0)
	v_mul_f64 v[80:81], v[78:79], v[86:87]
	v_mul_f64 v[82:83], v[76:77], v[86:87]
	s_delay_alu instid0(VALU_DEP_2) | instskip(NEXT) | instid1(VALU_DEP_2)
	v_fma_f64 v[76:77], v[76:77], v[84:85], v[80:81]
	v_fma_f64 v[78:79], v[78:79], v[84:85], -v[82:83]
	global_load_b128 v[80:83], v[48:49], off
	v_add_co_u32 v48, vcc_lo, v48, s4
	v_add_co_ci_u32_e32 v49, vcc_lo, s3, v49, vcc_lo
	s_waitcnt vmcnt(0)
	v_mul_f64 v[84:85], v[82:83], v[90:91]
	v_mul_f64 v[86:87], v[80:81], v[90:91]
	s_delay_alu instid0(VALU_DEP_2) | instskip(NEXT) | instid1(VALU_DEP_2)
	v_fma_f64 v[80:81], v[80:81], v[88:89], v[84:85]
	v_fma_f64 v[82:83], v[82:83], v[88:89], -v[86:87]
	global_load_b128 v[84:87], v[48:49], off
	s_waitcnt vmcnt(0)
	v_mul_f64 v[88:89], v[86:87], v[94:95]
	v_mul_f64 v[90:91], v[84:85], v[94:95]
	global_load_b128 v[94:97], v[50:51], off offset:3136
	v_fma_f64 v[84:85], v[84:85], v[92:93], v[88:89]
	v_add_co_u32 v88, vcc_lo, v48, s4
	v_add_co_ci_u32_e32 v89, vcc_lo, s3, v49, vcc_lo
	v_fma_f64 v[86:87], v[86:87], v[92:93], -v[90:91]
	global_load_b128 v[48:51], v[88:89], off
	s_waitcnt vmcnt(1)
	scratch_store_b128 off, v[94:97], off offset:168 ; 16-byte Folded Spill
	s_waitcnt vmcnt(0)
	v_mul_f64 v[92:93], v[48:49], v[96:97]
	v_mul_f64 v[90:91], v[50:51], v[96:97]
	s_delay_alu instid0(VALU_DEP_2) | instskip(SKIP_2) | instid1(VALU_DEP_4)
	v_fma_f64 v[50:51], v[50:51], v[94:95], -v[92:93]
	v_add_co_u32 v92, vcc_lo, v88, s4
	v_add_co_ci_u32_e32 v93, vcc_lo, s3, v89, vcc_lo
	v_fma_f64 v[48:49], v[48:49], v[94:95], v[90:91]
	global_load_b128 v[88:91], v[92:93], off
	s_waitcnt vmcnt(0)
	v_mul_f64 v[96:97], v[88:89], v[100:101]
	v_mul_f64 v[94:95], v[90:91], v[100:101]
	s_delay_alu instid0(VALU_DEP_2) | instskip(SKIP_1) | instid1(VALU_DEP_3)
	v_fma_f64 v[90:91], v[90:91], v[98:99], -v[96:97]
	v_mad_u64_u32 v[96:97], null, 0xffff5d80, s12, v[92:93]
	v_fma_f64 v[88:89], v[88:89], v[98:99], v[94:95]
	s_mov_b32 s12, 0x134454ff
	s_mov_b32 s13, 0x3fee6f0e
	;; [unrolled: 1-line block ×3, first 2 shown]
	s_delay_alu instid0(VALU_DEP_2) | instskip(SKIP_4) | instid1(VALU_DEP_2)
	v_add_nc_u32_e32 v97, s2, v97
	global_load_b128 v[92:95], v[96:97], off
	s_waitcnt vmcnt(0)
	v_mul_f64 v[100:101], v[92:93], v[108:109]
	v_mul_f64 v[98:99], v[94:95], v[108:109]
	v_fma_f64 v[94:95], v[94:95], v[106:107], -v[100:101]
	v_add_co_u32 v100, vcc_lo, v96, s4
	v_add_co_ci_u32_e32 v101, vcc_lo, s3, v97, vcc_lo
	s_delay_alu instid0(VALU_DEP_4)
	v_fma_f64 v[92:93], v[92:93], v[106:107], v[98:99]
	global_load_b128 v[106:109], v[38:39], off offset:3904
	global_load_b128 v[96:99], v[100:101], off
	s_waitcnt vmcnt(1)
	scratch_store_b128 off, v[106:109], off offset:136 ; 16-byte Folded Spill
	s_waitcnt vmcnt(0)
	v_mul_f64 v[38:39], v[98:99], v[108:109]
	v_mul_f64 v[102:103], v[96:97], v[108:109]
	global_load_b128 v[108:111], v[44:45], off offset:512
	v_fma_f64 v[96:97], v[96:97], v[106:107], v[38:39]
	v_add_co_u32 v38, vcc_lo, v100, s4
	v_add_co_ci_u32_e32 v39, vcc_lo, s3, v101, vcc_lo
	v_fma_f64 v[98:99], v[98:99], v[106:107], -v[102:103]
	global_load_b128 v[100:103], v[38:39], off
	s_waitcnt vmcnt(1)
	scratch_store_b128 off, v[108:111], off offset:152 ; 16-byte Folded Spill
	s_waitcnt vmcnt(0)
	v_mul_f64 v[44:45], v[102:103], v[110:111]
	v_mul_f64 v[106:107], v[100:101], v[110:111]
	global_load_b128 v[110:113], v[40:41], off offset:1216
	v_fma_f64 v[100:101], v[100:101], v[108:109], v[44:45]
	v_add_co_u32 v44, vcc_lo, v38, s4
	v_add_co_ci_u32_e32 v45, vcc_lo, s3, v39, vcc_lo
	v_fma_f64 v[102:103], v[102:103], v[108:109], -v[106:107]
	;; [unrolled: 11-line block ×3, first 2 shown]
	global_load_b128 v[42:45], v[106:107], off
	s_waitcnt vmcnt(1)
	scratch_store_b128 off, v[112:115], off offset:24 ; 16-byte Folded Spill
	s_waitcnt vmcnt(0)
	v_mul_f64 v[108:109], v[44:45], v[114:115]
	v_mul_f64 v[110:111], v[42:43], v[114:115]
	s_delay_alu instid0(VALU_DEP_2) | instskip(SKIP_2) | instid1(VALU_DEP_4)
	v_fma_f64 v[42:43], v[42:43], v[112:113], v[108:109]
	v_add_co_u32 v108, vcc_lo, v106, s4
	v_add_co_ci_u32_e32 v109, vcc_lo, s3, v107, vcc_lo
	v_fma_f64 v[44:45], v[44:45], v[112:113], -v[110:111]
	global_load_b128 v[104:107], v[108:109], off
	s_waitcnt vmcnt(0)
	v_mul_f64 v[112:113], v[104:105], v[120:121]
	v_mul_f64 v[110:111], v[106:107], v[120:121]
	s_delay_alu instid0(VALU_DEP_2) | instskip(SKIP_2) | instid1(VALU_DEP_4)
	v_fma_f64 v[106:107], v[106:107], v[118:119], -v[112:113]
	v_add_co_u32 v112, vcc_lo, v108, s4
	v_add_co_ci_u32_e32 v113, vcc_lo, s3, v109, vcc_lo
	v_fma_f64 v[104:105], v[104:105], v[118:119], v[110:111]
	global_load_b128 v[118:121], v[36:37], off offset:3328
	global_load_b128 v[108:111], v[112:113], off
	s_waitcnt vmcnt(1)
	scratch_store_b128 off, v[118:121], off offset:8 ; 16-byte Folded Spill
	s_waitcnt vmcnt(0)
	v_mul_f64 v[36:37], v[110:111], v[120:121]
	v_mul_f64 v[114:115], v[108:109], v[120:121]
	global_load_b128 v[120:123], v[46:47], off offset:4032
	v_fma_f64 v[108:109], v[108:109], v[118:119], v[36:37]
	v_add_co_u32 v36, vcc_lo, v112, s4
	v_add_co_ci_u32_e32 v37, vcc_lo, s3, v113, vcc_lo
	v_fma_f64 v[110:111], v[110:111], v[118:119], -v[114:115]
	global_load_b128 v[112:115], v[36:37], off
	v_add_co_u32 v36, vcc_lo, v36, s4
	v_add_co_ci_u32_e32 v37, vcc_lo, s3, v37, vcc_lo
	s_waitcnt vmcnt(1)
	scratch_store_b128 off, v[120:123], off offset:56 ; 16-byte Folded Spill
	s_waitcnt vmcnt(0)
	v_mul_f64 v[118:119], v[112:113], v[122:123]
	v_mul_f64 v[46:47], v[114:115], v[122:123]
	s_delay_alu instid0(VALU_DEP_2)
	v_fma_f64 v[114:115], v[114:115], v[120:121], -v[118:119]
	global_load_b128 v[126:129], v[116:117], off offset:640
	global_load_b128 v[116:119], v[36:37], off
	v_fma_f64 v[112:113], v[112:113], v[120:121], v[46:47]
	v_add_co_u32 v36, vcc_lo, v36, s4
	v_add_co_ci_u32_e32 v37, vcc_lo, s3, v37, vcc_lo
	s_mov_b32 s2, 0x4755a5e
	s_mov_b32 s3, 0x3fe2cf23
	;; [unrolled: 1-line block ×3, first 2 shown]
	s_waitcnt vmcnt(0)
	v_mul_f64 v[46:47], v[118:119], v[128:129]
	v_mul_f64 v[120:121], v[116:117], v[128:129]
	s_delay_alu instid0(VALU_DEP_2)
	v_fma_f64 v[116:117], v[116:117], v[126:127], v[46:47]
	v_add_co_u32 v46, vcc_lo, 0xb000, v125
	v_add_co_ci_u32_e32 v47, vcc_lo, 0, v130, vcc_lo
	scratch_store_b128 off, v[126:129], off offset:88 ; 16-byte Folded Spill
	v_fma_f64 v[118:119], v[118:119], v[126:127], -v[120:121]
	scratch_store_b64 off, v[46:47], off offset:1388 ; 8-byte Folded Spill
	global_load_b128 v[120:123], v[36:37], off
	global_load_b128 v[126:129], v[46:47], off offset:1344
	s_waitcnt vmcnt(0)
	v_mul_f64 v[36:37], v[122:123], v[128:129]
	v_mul_f64 v[46:47], v[120:121], v[128:129]
	scratch_store_b128 off, v[126:129], off offset:104 ; 16-byte Folded Spill
	v_fma_f64 v[120:121], v[120:121], v[126:127], v[36:37]
	v_fma_f64 v[122:123], v[122:123], v[126:127], -v[46:47]
	ds_store_b128 v124, v[12:15]
	ds_store_b128 v124, v[20:23] offset:4800
	ds_store_b128 v124, v[16:19] offset:9600
	;; [unrolled: 1-line block ×29, first 2 shown]
	s_load_b128 s[4:7], s[6:7], 0x0
	s_waitcnt lgkmcnt(0)
	s_waitcnt_vscnt null, 0x0
	s_barrier
	buffer_gl0_inv
	ds_load_b128 v[0:3], v124
	ds_load_b128 v[4:7], v124 offset:9600
	ds_load_b128 v[12:15], v124 offset:19200
	;; [unrolled: 1-line block ×4, first 2 shown]
	s_waitcnt lgkmcnt(3)
	v_add_f64 v[8:9], v[0:1], v[4:5]
	s_waitcnt lgkmcnt(2)
	v_add_f64 v[192:193], v[4:5], -v[12:13]
	v_add_f64 v[30:31], v[12:13], -v[4:5]
	;; [unrolled: 1-line block ×4, first 2 shown]
	s_waitcnt lgkmcnt(1)
	v_add_f64 v[20:21], v[6:7], -v[36:37]
	v_add_f64 v[180:181], v[4:5], v[34:35]
	v_add_f64 v[22:23], v[4:5], -v[34:35]
	v_add_f64 v[182:183], v[6:7], v[36:37]
	s_waitcnt lgkmcnt(0)
	v_add_f64 v[176:177], v[12:13], v[24:25]
	v_add_f64 v[18:19], v[12:13], -v[24:25]
	v_add_f64 v[196:197], v[34:35], -v[24:25]
	;; [unrolled: 1-line block ×5, first 2 shown]
	v_add_f64 v[178:179], v[14:15], v[26:27]
	v_add_f64 v[28:29], v[8:9], v[12:13]
	;; [unrolled: 1-line block ×3, first 2 shown]
	v_fma_f64 v[176:177], v[176:177], -0.5, v[0:1]
	v_add_f64 v[192:193], v[192:193], v[196:197]
	v_add_f64 v[194:195], v[194:195], v[198:199]
	v_fma_f64 v[178:179], v[178:179], -0.5, v[2:3]
	v_add_f64 v[4:5], v[28:29], v[24:25]
	v_add_f64 v[38:39], v[8:9], v[14:15]
	s_delay_alu instid0(VALU_DEP_2) | instskip(NEXT) | instid1(VALU_DEP_2)
	v_add_f64 v[132:133], v[4:5], v[34:35]
	v_add_f64 v[6:7], v[38:39], v[26:27]
	v_add_f64 v[38:39], v[24:25], -v[34:35]
	s_delay_alu instid0(VALU_DEP_2)
	v_add_f64 v[134:135], v[6:7], v[36:37]
	ds_load_b128 v[4:7], v124 offset:4800
	ds_load_b128 v[46:49], v124 offset:14400
	ds_load_b128 v[34:37], v124 offset:24000
	ds_load_b128 v[50:53], v124 offset:33600
	ds_load_b128 v[54:57], v124 offset:43200
	ds_load_b128 v[64:67], v124 offset:11200
	ds_load_b128 v[148:151], v124 offset:1600
	ds_load_b128 v[76:79], v124 offset:30400
	ds_load_b128 v[80:83], v124 offset:40000
	s_waitcnt lgkmcnt(7)
	v_add_f64 v[24:25], v[4:5], v[46:47]
	v_add_f64 v[26:27], v[6:7], v[48:49]
	s_waitcnt lgkmcnt(5)
	v_add_f64 v[184:185], v[34:35], v[50:51]
	v_add_f64 v[200:201], v[46:47], -v[34:35]
	v_add_f64 v[42:43], v[34:35], -v[46:47]
	;; [unrolled: 1-line block ×3, first 2 shown]
	s_waitcnt lgkmcnt(4)
	v_add_f64 v[186:187], v[46:47], v[54:55]
	v_add_f64 v[224:225], v[36:37], v[52:53]
	v_add_f64 v[202:203], v[48:49], -v[36:37]
	v_add_f64 v[44:45], v[36:37], -v[48:49]
	v_add_f64 v[168:169], v[48:49], v[56:57]
	v_add_f64 v[204:205], v[54:55], -v[50:51]
	v_add_f64 v[206:207], v[56:57], -v[52:53]
	s_waitcnt lgkmcnt(0)
	v_add_f64 v[234:235], v[64:65], v[80:81]
	v_add_f64 v[236:237], v[66:67], v[82:83]
	v_add_f64 v[74:75], v[80:81], -v[76:77]
	v_add_f64 v[24:25], v[24:25], v[34:35]
	v_add_f64 v[58:59], v[26:27], v[36:37]
	v_add_f64 v[34:35], v[46:47], -v[54:55]
	v_add_f64 v[26:27], v[36:37], -v[52:53]
	;; [unrolled: 1-line block ×4, first 2 shown]
	v_fma_f64 v[186:187], v[186:187], -0.5, v[4:5]
	v_add_f64 v[198:199], v[200:201], v[204:205]
	v_add_f64 v[196:197], v[202:203], v[206:207]
	v_add_f64 v[24:25], v[24:25], v[50:51]
	v_add_f64 v[46:47], v[58:59], v[52:53]
	v_add_f64 v[50:51], v[52:53], -v[56:57]
	v_add_f64 v[42:43], v[42:43], v[48:49]
	s_delay_alu instid0(VALU_DEP_4)
	v_add_f64 v[170:171], v[24:25], v[54:55]
	v_add_f64 v[24:25], v[148:149], v[64:65]
	ds_load_b128 v[52:55], v124 offset:20800
	v_add_f64 v[172:173], v[46:47], v[56:57]
	v_add_f64 v[46:47], v[150:151], v[66:67]
	ds_load_b128 v[212:215], v124 offset:6400
	ds_load_b128 v[90:93], v124 offset:16000
	v_add_f64 v[56:57], v[64:65], -v[80:81]
	ds_load_b128 v[98:101], v124 offset:35200
	ds_load_b128 v[106:109], v124 offset:44800
	v_add_f64 v[44:45], v[44:45], v[50:51]
	s_waitcnt lgkmcnt(4)
	v_add_f64 v[62:63], v[64:65], -v[52:53]
	v_add_f64 v[58:59], v[52:53], -v[64:65]
	v_add_f64 v[174:175], v[52:53], v[76:77]
	v_add_f64 v[232:233], v[54:55], v[78:79]
	v_add_f64 v[70:71], v[66:67], -v[54:55]
	v_add_f64 v[60:61], v[54:55], -v[66:67]
	s_waitcnt lgkmcnt(0)
	v_add_f64 v[248:249], v[92:93], v[108:109]
	v_add_f64 v[102:103], v[106:107], -v[98:99]
	v_add_f64 v[104:105], v[108:109], -v[100:101]
	;; [unrolled: 1-line block ×3, first 2 shown]
	v_add_f64 v[246:247], v[90:91], v[106:107]
	v_add_f64 v[228:229], v[132:133], -v[170:171]
	v_add_f64 v[24:25], v[24:25], v[52:53]
	v_add_f64 v[52:53], v[52:53], -v[76:77]
	v_add_f64 v[226:227], v[134:135], v[172:173]
	v_add_f64 v[68:69], v[46:47], v[54:55]
	v_add_f64 v[46:47], v[54:55], -v[78:79]
	v_add_f64 v[54:55], v[66:67], -v[82:83]
	;; [unrolled: 1-line block ×4, first 2 shown]
	v_fma_f64 v[172:173], v[236:237], -0.5, v[150:151]
	v_add_f64 v[24:25], v[24:25], v[76:77]
	v_add_f64 v[76:77], v[82:83], -v[78:79]
	v_add_f64 v[64:65], v[68:69], v[78:79]
	v_add_f64 v[68:69], v[78:79], -v[82:83]
	s_delay_alu instid0(VALU_DEP_4)
	v_add_f64 v[238:239], v[24:25], v[80:81]
	v_add_f64 v[24:25], v[212:213], v[90:91]
	ds_load_b128 v[78:81], v124 offset:25600
	v_add_f64 v[240:241], v[64:65], v[82:83]
	v_add_f64 v[64:65], v[214:215], v[92:93]
	ds_load_b128 v[216:219], v124 offset:3200
	ds_load_b128 v[112:115], v124 offset:12800
	;; [unrolled: 1-line block ×4, first 2 shown]
	s_waitcnt lgkmcnt(4)
	v_add_f64 v[242:243], v[78:79], v[98:99]
	v_add_f64 v[244:245], v[80:81], v[100:101]
	v_add_f64 v[72:73], v[78:79], -v[98:99]
	v_add_f64 v[96:97], v[92:93], -v[80:81]
	;; [unrolled: 1-line block ×5, first 2 shown]
	s_waitcnt lgkmcnt(0)
	v_add_f64 v[10:11], v[112:113], v[138:139]
	v_add_f64 v[12:13], v[114:115], v[140:141]
	v_add_f64 v[122:123], v[138:139], -v[126:127]
	v_add_f64 v[208:209], v[140:141], -v[128:129]
	v_add_f64 v[24:25], v[24:25], v[78:79]
	v_add_f64 v[78:79], v[90:91], -v[106:107]
	v_add_f64 v[84:85], v[64:65], v[80:81]
	v_add_f64 v[64:65], v[80:81], -v[100:101]
	v_add_f64 v[80:81], v[92:93], -v[108:109]
	;; [unrolled: 1-line block ×3, first 2 shown]
	v_fma_f64 v[236:237], v[244:245], -0.5, v[214:215]
	v_add_f64 v[86:87], v[86:87], v[94:95]
	v_add_f64 v[24:25], v[24:25], v[98:99]
	;; [unrolled: 1-line block ×3, first 2 shown]
	ds_load_b128 v[98:101], v124 offset:22400
	ds_load_b128 v[220:223], v124 offset:8000
	;; [unrolled: 1-line block ×5, first 2 shown]
	v_add_f64 v[82:83], v[82:83], v[92:93]
	s_waitcnt lgkmcnt(4)
	v_add_f64 v[254:255], v[98:99], v[126:127]
	v_add_f64 v[110:111], v[112:113], -v[98:99]
	v_add_f64 v[8:9], v[100:101], v[128:129]
	v_add_f64 v[90:91], v[98:99], -v[126:127]
	v_add_f64 v[118:119], v[114:115], -v[100:101]
	s_waitcnt lgkmcnt(0)
	v_add_f64 v[166:167], v[144:145], v[162:163]
	v_add_f64 v[250:251], v[24:25], v[106:107]
	;; [unrolled: 1-line block ×3, first 2 shown]
	v_add_f64 v[106:107], v[98:99], -v[112:113]
	v_add_f64 v[252:253], v[84:85], v[108:109]
	v_add_f64 v[84:85], v[218:219], v[114:115]
	v_add_f64 v[108:109], v[100:101], -v[114:115]
	v_fma_f64 v[134:135], v[8:9], -0.5, v[218:219]
	v_add_f64 v[8:9], v[238:239], v[250:251]
	v_add_f64 v[24:25], v[24:25], v[98:99]
	v_add_f64 v[98:99], v[114:115], -v[140:141]
	v_add_f64 v[114:115], v[126:127], -v[138:139]
	v_add_f64 v[116:117], v[84:85], v[100:101]
	v_add_f64 v[84:85], v[100:101], -v[128:129]
	v_add_f64 v[100:101], v[112:113], -v[138:139]
	v_add_f64 v[24:25], v[24:25], v[126:127]
	s_delay_alu instid0(VALU_DEP_4)
	v_add_f64 v[112:113], v[116:117], v[128:129]
	v_add_f64 v[116:117], v[128:129], -v[140:141]
	ds_load_b128 v[126:129], v124 offset:27200
	s_waitcnt lgkmcnt(0)
	s_barrier
	buffer_gl0_inv
	v_add_f64 v[136:137], v[126:127], v[158:159]
	v_add_f64 v[142:143], v[144:145], -v[126:127]
	v_add_f64 v[210:211], v[126:127], -v[144:145]
	;; [unrolled: 1-line block ×3, first 2 shown]
	v_add_f64 v[154:155], v[128:129], v[160:161]
	v_add_f64 v[152:153], v[146:147], -v[128:129]
	v_add_f64 v[138:139], v[24:25], v[138:139]
	v_add_f64 v[24:25], v[220:221], v[144:145]
	;; [unrolled: 1-line block ×4, first 2 shown]
	v_add_f64 v[140:141], v[128:129], -v[146:147]
	s_delay_alu instid0(VALU_DEP_4)
	v_add_f64 v[24:25], v[24:25], v[126:127]
	v_add_f64 v[126:127], v[144:145], -v[162:163]
	v_add_f64 v[144:145], v[146:147], v[164:165]
	v_add_f64 v[156:157], v[112:113], v[128:129]
	v_add_f64 v[112:113], v[128:129], -v[160:161]
	v_add_f64 v[128:129], v[146:147], -v[164:165]
	;; [unrolled: 1-line block ×3, first 2 shown]
	v_add_f64 v[188:189], v[24:25], v[158:159]
	v_add_f64 v[24:25], v[158:159], -v[162:163]
	v_fma_f64 v[144:145], v[144:145], -0.5, v[222:223]
	v_add_f64 v[190:191], v[156:157], v[160:161]
	v_add_f64 v[156:157], v[162:163], -v[158:159]
	v_add_f64 v[158:159], v[164:165], -v[160:161]
	v_fma_f64 v[160:161], v[174:175], -0.5, v[148:149]
	v_fma_f64 v[174:175], v[234:235], -0.5, v[148:149]
	;; [unrolled: 1-line block ×6, first 2 shown]
	v_add_f64 v[162:163], v[188:189], v[162:163]
	v_fma_f64 v[188:189], v[182:183], -0.5, v[2:3]
	v_fma_f64 v[182:183], v[184:185], -0.5, v[4:5]
	v_add_f64 v[164:165], v[190:191], v[164:165]
	v_fma_f64 v[190:191], v[180:181], -0.5, v[0:1]
	v_fma_f64 v[180:181], v[224:225], -0.5, v[6:7]
	;; [unrolled: 1-line block ×4, first 2 shown]
	v_add_f64 v[224:225], v[132:133], v[170:171]
	v_fma_f64 v[170:171], v[246:247], -0.5, v[212:213]
	v_fma_f64 v[212:213], v[136:137], -0.5, v[220:221]
	;; [unrolled: 1-line block ×4, first 2 shown]
	v_add_f64 v[24:25], v[210:211], v[24:25]
	v_fma_f64 v[214:215], v[10:11], -0.5, v[216:217]
	v_add_f64 v[10:11], v[240:241], v[252:253]
	v_add_f64 v[4:5], v[238:239], -v[250:251]
	v_add_f64 v[6:7], v[240:241], -v[252:253]
	v_add_f64 v[0:1], v[138:139], v[162:163]
	v_add_f64 v[12:13], v[138:139], -v[162:163]
	v_mul_lo_u16 v138, v131, 10
	v_add_f64 v[2:3], v[14:15], v[164:165]
	v_add_f64 v[14:15], v[14:15], -v[164:165]
	v_fma_f64 v[154:155], v[34:35], s[14:15], v[180:181]
	v_fma_f64 v[164:165], v[22:23], s[14:15], v[178:179]
	v_and_b32_e32 v138, 0xffff, v138
	s_delay_alu instid0(VALU_DEP_1)
	v_lshlrev_b32_e32 v248, 4, v138
	v_fma_f64 v[138:139], v[36:37], s[12:13], v[182:183]
	ds_store_b128 v248, v[224:227]
	ds_store_b128 v248, v[228:231] offset:80
	v_fma_f64 v[154:155], v[28:29], s[8:9], v[154:155]
	v_fma_f64 v[164:165], v[18:19], s[8:9], v[164:165]
	;; [unrolled: 1-line block ×3, first 2 shown]
	s_delay_alu instid0(VALU_DEP_3) | instskip(NEXT) | instid1(VALU_DEP_3)
	v_fma_f64 v[154:155], v[196:197], s[16:17], v[154:155]
	v_fma_f64 v[164:165], v[194:195], s[16:17], v[164:165]
	s_delay_alu instid0(VALU_DEP_3) | instskip(NEXT) | instid1(VALU_DEP_1)
	v_fma_f64 v[138:139], v[198:199], s[16:17], v[138:139]
	v_mul_f64 v[162:163], v[138:139], s[18:19]
	v_mul_f64 v[138:139], v[138:139], s[8:9]
	s_delay_alu instid0(VALU_DEP_2) | instskip(NEXT) | instid1(VALU_DEP_2)
	v_fma_f64 v[162:163], v[154:155], s[2:3], v[162:163]
	v_fma_f64 v[138:139], v[154:155], s[18:19], v[138:139]
	v_fma_f64 v[154:155], v[20:21], s[12:13], v[176:177]
	s_delay_alu instid0(VALU_DEP_2) | instskip(NEXT) | instid1(VALU_DEP_2)
	v_add_f64 v[202:203], v[164:165], v[138:139]
	v_fma_f64 v[154:155], v[16:17], s[2:3], v[154:155]
	v_add_f64 v[206:207], v[164:165], -v[138:139]
	v_add_f64 v[138:139], v[30:31], v[38:39]
	v_fma_f64 v[30:31], v[28:29], s[12:13], v[184:185]
	s_delay_alu instid0(VALU_DEP_4) | instskip(NEXT) | instid1(VALU_DEP_2)
	v_fma_f64 v[154:155], v[192:193], s[16:17], v[154:155]
	v_fma_f64 v[30:31], v[34:35], s[8:9], v[30:31]
	s_delay_alu instid0(VALU_DEP_2) | instskip(SKIP_4) | instid1(VALU_DEP_2)
	v_add_f64 v[200:201], v[154:155], v[162:163]
	v_add_f64 v[204:205], v[154:155], -v[162:163]
	v_add_f64 v[154:155], v[32:33], v[40:41]
	v_fma_f64 v[32:33], v[26:27], s[14:15], v[186:187]
	v_fma_f64 v[30:31], v[44:45], s[16:17], v[30:31]
	;; [unrolled: 1-line block ×3, first 2 shown]
	s_delay_alu instid0(VALU_DEP_2) | instskip(NEXT) | instid1(VALU_DEP_2)
	v_mul_f64 v[38:39], v[30:31], s[12:13]
	v_fma_f64 v[32:33], v[42:43], s[16:17], v[32:33]
	s_delay_alu instid0(VALU_DEP_1) | instskip(SKIP_1) | instid1(VALU_DEP_1)
	v_fma_f64 v[38:39], v[32:33], s[16:17], v[38:39]
	v_mul_f64 v[32:33], v[32:33], s[14:15]
	v_fma_f64 v[40:41], v[30:31], s[16:17], v[32:33]
	v_fma_f64 v[30:31], v[16:17], s[14:15], v[190:191]
	;; [unrolled: 1-line block ×3, first 2 shown]
	s_delay_alu instid0(VALU_DEP_2) | instskip(NEXT) | instid1(VALU_DEP_2)
	v_fma_f64 v[30:31], v[20:21], s[2:3], v[30:31]
	v_fma_f64 v[32:33], v[22:23], s[8:9], v[32:33]
	s_delay_alu instid0(VALU_DEP_2) | instskip(NEXT) | instid1(VALU_DEP_2)
	v_fma_f64 v[48:49], v[138:139], s[16:17], v[30:31]
	v_fma_f64 v[50:51], v[154:155], s[16:17], v[32:33]
	s_delay_alu instid0(VALU_DEP_2) | instskip(SKIP_2) | instid1(VALU_DEP_4)
	v_add_f64 v[30:31], v[48:49], v[38:39]
	v_add_f64 v[38:39], v[48:49], -v[38:39]
	v_fma_f64 v[48:49], v[16:17], s[12:13], v[190:191]
	v_add_f64 v[32:33], v[50:51], v[40:41]
	v_add_f64 v[40:41], v[50:51], -v[40:41]
	v_fma_f64 v[50:51], v[18:19], s[14:15], v[188:189]
	s_delay_alu instid0(VALU_DEP_4) | instskip(SKIP_1) | instid1(VALU_DEP_3)
	v_fma_f64 v[48:49], v[20:21], s[8:9], v[48:49]
	v_fma_f64 v[20:21], v[20:21], s[14:15], v[176:177]
	;; [unrolled: 1-line block ×4, first 2 shown]
	s_delay_alu instid0(VALU_DEP_4) | instskip(SKIP_4) | instid1(VALU_DEP_4)
	v_fma_f64 v[48:49], v[138:139], s[16:17], v[48:49]
	v_fma_f64 v[138:139], v[26:27], s[12:13], v[186:187]
	;; [unrolled: 1-line block ×7, first 2 shown]
	s_delay_alu instid0(VALU_DEP_2) | instskip(SKIP_1) | instid1(VALU_DEP_3)
	v_fma_f64 v[42:43], v[42:43], s[16:17], v[138:139]
	v_fma_f64 v[138:139], v[28:29], s[14:15], v[184:185]
	;; [unrolled: 1-line block ×3, first 2 shown]
	v_add_f64 v[36:37], v[70:71], v[76:77]
	v_add_f64 v[70:71], v[96:97], v[104:105]
	v_fma_f64 v[104:105], v[112:113], s[14:15], v[148:149]
	v_fma_f64 v[138:139], v[34:35], s[2:3], v[138:139]
	;; [unrolled: 1-line block ×9, first 2 shown]
	v_mul_f64 v[18:19], v[22:23], s[20:21]
	v_add_f64 v[34:35], v[62:63], v[74:75]
	v_add_f64 v[62:63], v[88:89], v[102:103]
	v_fma_f64 v[102:103], v[120:121], s[12:13], v[144:145]
	v_fma_f64 v[104:105], v[24:25], s[16:17], v[104:105]
	v_mul_f64 v[138:139], v[42:43], s[22:23]
	v_fma_f64 v[16:17], v[196:197], s[16:17], v[20:21]
	s_delay_alu instid0(VALU_DEP_4) | instskip(NEXT) | instid1(VALU_DEP_3)
	v_fma_f64 v[102:103], v[126:127], s[8:9], v[102:103]
	v_fma_f64 v[138:139], v[44:45], s[12:13], v[138:139]
	v_mul_f64 v[44:45], v[44:45], s[22:23]
	s_delay_alu instid0(VALU_DEP_4) | instskip(SKIP_1) | instid1(VALU_DEP_3)
	v_fma_f64 v[20:21], v[16:17], s[2:3], v[18:19]
	v_mul_f64 v[16:17], v[16:17], s[20:21]
	v_fma_f64 v[154:155], v[42:43], s[14:15], v[44:45]
	v_add_f64 v[42:43], v[48:49], v[138:139]
	v_add_f64 v[48:49], v[48:49], -v[138:139]
	s_delay_alu instid0(VALU_DEP_4)
	v_fma_f64 v[22:23], v[22:23], s[8:9], v[16:17]
	v_add_f64 v[16:17], v[26:27], v[20:21]
	v_add_f64 v[20:21], v[26:27], -v[20:21]
	v_fma_f64 v[26:27], v[80:81], s[12:13], v[232:233]
	v_add_f64 v[44:45], v[50:51], v[154:155]
	v_add_f64 v[50:51], v[50:51], -v[154:155]
	v_add_f64 v[18:19], v[28:29], v[22:23]
	v_add_f64 v[22:23], v[28:29], -v[22:23]
	v_fma_f64 v[28:29], v[78:79], s[14:15], v[236:237]
	v_fma_f64 v[26:27], v[64:65], s[2:3], v[26:27]
	ds_store_b128 v248, v[200:203] offset:16
	ds_store_b128 v248, v[30:33] offset:32
	;; [unrolled: 1-line block ×8, first 2 shown]
	v_and_b32_e32 v17, 0xffff, v131
	v_fma_f64 v[28:29], v[72:73], s[8:9], v[28:29]
	v_fma_f64 v[26:27], v[62:63], s[16:17], v[26:27]
	s_delay_alu instid0(VALU_DEP_3) | instskip(NEXT) | instid1(VALU_DEP_3)
	v_add_co_u32 v50, null, 0xc8, v17
	v_fma_f64 v[28:29], v[70:71], s[16:17], v[28:29]
	s_delay_alu instid0(VALU_DEP_3) | instskip(SKIP_1) | instid1(VALU_DEP_2)
	v_mul_f64 v[74:75], v[26:27], s[18:19]
	v_mul_f64 v[26:27], v[26:27], s[8:9]
	v_fma_f64 v[74:75], v[28:29], s[2:3], v[74:75]
	s_delay_alu instid0(VALU_DEP_2) | instskip(SKIP_2) | instid1(VALU_DEP_2)
	v_fma_f64 v[76:77], v[28:29], s[18:19], v[26:27]
	v_fma_f64 v[26:27], v[54:55], s[12:13], v[160:161]
	;; [unrolled: 1-line block ×4, first 2 shown]
	s_delay_alu instid0(VALU_DEP_2) | instskip(NEXT) | instid1(VALU_DEP_2)
	v_fma_f64 v[28:29], v[52:53], s[8:9], v[28:29]
	v_fma_f64 v[88:89], v[34:35], s[16:17], v[26:27]
	s_delay_alu instid0(VALU_DEP_2) | instskip(NEXT) | instid1(VALU_DEP_2)
	v_fma_f64 v[96:97], v[36:37], s[16:17], v[28:29]
	v_add_f64 v[26:27], v[88:89], v[74:75]
	v_add_f64 v[74:75], v[88:89], -v[74:75]
	v_add_f64 v[88:89], v[58:59], v[66:67]
	v_fma_f64 v[58:59], v[72:73], s[12:13], v[168:169]
	v_add_f64 v[28:29], v[96:97], v[76:77]
	v_add_f64 v[76:77], v[96:97], -v[76:77]
	v_add_f64 v[96:97], v[60:61], v[68:69]
	v_fma_f64 v[60:61], v[64:65], s[14:15], v[170:171]
	v_fma_f64 v[58:59], v[78:79], s[8:9], v[58:59]
	s_delay_alu instid0(VALU_DEP_2) | instskip(NEXT) | instid1(VALU_DEP_2)
	v_fma_f64 v[60:61], v[80:81], s[2:3], v[60:61]
	v_fma_f64 v[58:59], v[86:87], s[16:17], v[58:59]
	s_delay_alu instid0(VALU_DEP_2) | instskip(NEXT) | instid1(VALU_DEP_2)
	v_fma_f64 v[60:61], v[82:83], s[16:17], v[60:61]
	v_mul_f64 v[66:67], v[58:59], s[12:13]
	s_delay_alu instid0(VALU_DEP_1) | instskip(SKIP_1) | instid1(VALU_DEP_1)
	v_fma_f64 v[66:67], v[60:61], s[16:17], v[66:67]
	v_mul_f64 v[60:61], v[60:61], s[14:15]
	v_fma_f64 v[68:69], v[58:59], s[16:17], v[60:61]
	v_fma_f64 v[58:59], v[46:47], s[14:15], v[174:175]
	;; [unrolled: 1-line block ×3, first 2 shown]
	s_delay_alu instid0(VALU_DEP_2) | instskip(NEXT) | instid1(VALU_DEP_2)
	v_fma_f64 v[58:59], v[54:55], s[2:3], v[58:59]
	v_fma_f64 v[60:61], v[56:57], s[8:9], v[60:61]
	s_delay_alu instid0(VALU_DEP_2) | instskip(NEXT) | instid1(VALU_DEP_2)
	v_fma_f64 v[92:93], v[88:89], s[16:17], v[58:59]
	v_fma_f64 v[94:95], v[96:97], s[16:17], v[60:61]
	s_delay_alu instid0(VALU_DEP_2) | instskip(SKIP_2) | instid1(VALU_DEP_4)
	v_add_f64 v[58:59], v[92:93], v[66:67]
	v_add_f64 v[66:67], v[92:93], -v[66:67]
	v_fma_f64 v[92:93], v[46:47], s[12:13], v[174:175]
	v_add_f64 v[60:61], v[94:95], v[68:69]
	v_add_f64 v[68:69], v[94:95], -v[68:69]
	s_delay_alu instid0(VALU_DEP_3) | instskip(SKIP_1) | instid1(VALU_DEP_2)
	v_fma_f64 v[92:93], v[54:55], s[8:9], v[92:93]
	v_fma_f64 v[54:55], v[54:55], s[14:15], v[160:161]
	;; [unrolled: 1-line block ×4, first 2 shown]
	s_delay_alu instid0(VALU_DEP_3) | instskip(NEXT) | instid1(VALU_DEP_2)
	v_fma_f64 v[46:47], v[46:47], s[8:9], v[54:55]
	v_fma_f64 v[88:89], v[56:57], s[2:3], v[88:89]
	v_fma_f64 v[56:57], v[56:57], s[12:13], v[234:235]
	s_delay_alu instid0(VALU_DEP_3) | instskip(NEXT) | instid1(VALU_DEP_3)
	v_fma_f64 v[34:35], v[34:35], s[16:17], v[46:47]
	v_fma_f64 v[94:95], v[96:97], s[16:17], v[88:89]
	;; [unrolled: 1-line block ×3, first 2 shown]
	s_delay_alu instid0(VALU_DEP_4) | instskip(NEXT) | instid1(VALU_DEP_2)
	v_fma_f64 v[52:53], v[52:53], s[2:3], v[56:57]
	v_fma_f64 v[88:89], v[80:81], s[8:9], v[88:89]
	;; [unrolled: 1-line block ×3, first 2 shown]
	s_delay_alu instid0(VALU_DEP_3) | instskip(NEXT) | instid1(VALU_DEP_3)
	v_fma_f64 v[36:37], v[36:37], s[16:17], v[52:53]
	v_fma_f64 v[82:83], v[82:83], s[16:17], v[88:89]
	;; [unrolled: 1-line block ×3, first 2 shown]
	s_delay_alu instid0(VALU_DEP_4) | instskip(NEXT) | instid1(VALU_DEP_2)
	v_fma_f64 v[64:65], v[64:65], s[8:9], v[80:81]
	v_fma_f64 v[88:89], v[78:79], s[2:3], v[88:89]
	;; [unrolled: 1-line block ×3, first 2 shown]
	s_delay_alu instid0(VALU_DEP_3) | instskip(NEXT) | instid1(VALU_DEP_3)
	v_fma_f64 v[56:57], v[62:63], s[16:17], v[64:65]
	v_fma_f64 v[86:87], v[86:87], s[16:17], v[88:89]
	s_delay_alu instid0(VALU_DEP_3) | instskip(NEXT) | instid1(VALU_DEP_3)
	v_fma_f64 v[54:55], v[72:73], s[2:3], v[78:79]
	v_mul_f64 v[52:53], v[56:57], s[20:21]
	v_fma_f64 v[72:73], v[126:127], s[14:15], v[136:137]
	v_mul_f64 v[88:89], v[82:83], s[22:23]
	s_delay_alu instid0(VALU_DEP_4) | instskip(SKIP_1) | instid1(VALU_DEP_4)
	v_fma_f64 v[46:47], v[70:71], s[16:17], v[54:55]
	v_fma_f64 v[70:71], v[128:129], s[12:13], v[212:213]
	;; [unrolled: 1-line block ×3, first 2 shown]
	s_delay_alu instid0(VALU_DEP_4) | instskip(SKIP_4) | instid1(VALU_DEP_4)
	v_fma_f64 v[96:97], v[86:87], s[12:13], v[88:89]
	v_mul_f64 v[86:87], v[86:87], s[22:23]
	v_fma_f64 v[62:63], v[46:47], s[2:3], v[52:53]
	v_mul_f64 v[46:47], v[46:47], s[20:21]
	v_fma_f64 v[70:71], v[112:113], s[2:3], v[70:71]
	v_fma_f64 v[82:83], v[82:83], s[14:15], v[86:87]
	v_add_f64 v[86:87], v[92:93], v[96:97]
	v_add_f64 v[92:93], v[92:93], -v[96:97]
	v_add_f64 v[52:53], v[34:35], v[62:63]
	v_fma_f64 v[46:47], v[56:57], s[8:9], v[46:47]
	v_add_f64 v[56:57], v[152:153], v[158:159]
	v_add_f64 v[62:63], v[34:35], -v[62:63]
	v_add_f64 v[34:35], v[110:111], v[122:123]
	v_add_f64 v[110:111], v[140:141], v[146:147]
	;; [unrolled: 1-line block ×3, first 2 shown]
	v_add_f64 v[94:95], v[94:95], -v[82:83]
	v_add_f64 v[54:55], v[36:37], v[46:47]
	v_add_f64 v[64:65], v[36:37], -v[46:47]
	v_add_f64 v[46:47], v[142:143], v[156:157]
	v_fma_f64 v[72:73], v[56:57], s[16:17], v[72:73]
	v_fma_f64 v[102:103], v[110:111], s[16:17], v[102:103]
	v_add_f64 v[36:37], v[118:119], v[208:209]
	s_delay_alu instid0(VALU_DEP_4) | instskip(NEXT) | instid1(VALU_DEP_1)
	v_fma_f64 v[70:71], v[46:47], s[16:17], v[70:71]
	v_mul_f64 v[78:79], v[70:71], s[18:19]
	v_mul_f64 v[70:71], v[70:71], s[8:9]
	s_delay_alu instid0(VALU_DEP_2) | instskip(NEXT) | instid1(VALU_DEP_2)
	v_fma_f64 v[78:79], v[72:73], s[2:3], v[78:79]
	v_fma_f64 v[80:81], v[72:73], s[18:19], v[70:71]
	;; [unrolled: 1-line block ×4, first 2 shown]
	s_delay_alu instid0(VALU_DEP_2) | instskip(NEXT) | instid1(VALU_DEP_2)
	v_fma_f64 v[70:71], v[84:85], s[2:3], v[70:71]
	v_fma_f64 v[72:73], v[90:91], s[8:9], v[72:73]
	s_delay_alu instid0(VALU_DEP_2) | instskip(NEXT) | instid1(VALU_DEP_2)
	v_fma_f64 v[82:83], v[34:35], s[16:17], v[70:71]
	v_fma_f64 v[96:97], v[36:37], s[16:17], v[72:73]
	s_delay_alu instid0(VALU_DEP_2)
	v_add_f64 v[70:71], v[82:83], v[78:79]
	v_add_f64 v[78:79], v[82:83], -v[78:79]
	v_add_f64 v[82:83], v[106:107], v[114:115]
	v_mul_f64 v[106:107], v[102:103], s[12:13]
	v_add_f64 v[72:73], v[96:97], v[80:81]
	v_add_f64 v[80:81], v[96:97], -v[80:81]
	v_add_f64 v[96:97], v[108:109], v[116:117]
	s_delay_alu instid0(VALU_DEP_4) | instskip(SKIP_1) | instid1(VALU_DEP_1)
	v_fma_f64 v[106:107], v[104:105], s[16:17], v[106:107]
	v_mul_f64 v[104:105], v[104:105], s[14:15]
	v_fma_f64 v[108:109], v[102:103], s[16:17], v[104:105]
	v_fma_f64 v[102:103], v[84:85], s[14:15], v[214:215]
	;; [unrolled: 1-line block ×3, first 2 shown]
	s_delay_alu instid0(VALU_DEP_2) | instskip(NEXT) | instid1(VALU_DEP_2)
	v_fma_f64 v[102:103], v[98:99], s[2:3], v[102:103]
	v_fma_f64 v[104:105], v[100:101], s[8:9], v[104:105]
	s_delay_alu instid0(VALU_DEP_2) | instskip(NEXT) | instid1(VALU_DEP_2)
	v_fma_f64 v[114:115], v[82:83], s[16:17], v[102:103]
	v_fma_f64 v[116:117], v[96:97], s[16:17], v[104:105]
	s_delay_alu instid0(VALU_DEP_2) | instskip(SKIP_2) | instid1(VALU_DEP_4)
	v_add_f64 v[102:103], v[114:115], v[106:107]
	v_add_f64 v[106:107], v[114:115], -v[106:107]
	v_fma_f64 v[114:115], v[84:85], s[12:13], v[214:215]
	v_add_f64 v[104:105], v[116:117], v[108:109]
	v_add_f64 v[108:109], v[116:117], -v[108:109]
	s_delay_alu instid0(VALU_DEP_3) | instskip(NEXT) | instid1(VALU_DEP_1)
	v_fma_f64 v[114:115], v[98:99], s[8:9], v[114:115]
	v_fma_f64 v[82:83], v[82:83], s[16:17], v[114:115]
	v_fma_f64 v[114:115], v[90:91], s[14:15], v[150:151]
	s_delay_alu instid0(VALU_DEP_1) | instskip(NEXT) | instid1(VALU_DEP_1)
	v_fma_f64 v[114:115], v[100:101], s[2:3], v[114:115]
	v_fma_f64 v[96:97], v[96:97], s[16:17], v[114:115]
	v_fma_f64 v[114:115], v[112:113], s[12:13], v[148:149]
	s_delay_alu instid0(VALU_DEP_1) | instskip(NEXT) | instid1(VALU_DEP_1)
	;; [unrolled: 4-line block ×3, first 2 shown]
	v_fma_f64 v[114:115], v[126:127], s[2:3], v[114:115]
	v_fma_f64 v[110:111], v[110:111], s[16:17], v[114:115]
	s_delay_alu instid0(VALU_DEP_4) | instskip(NEXT) | instid1(VALU_DEP_1)
	v_mul_f64 v[114:115], v[24:25], s[22:23]
	v_fma_f64 v[118:119], v[110:111], s[12:13], v[114:115]
	v_mul_f64 v[110:111], v[110:111], s[22:23]
	s_delay_alu instid0(VALU_DEP_2) | instskip(NEXT) | instid1(VALU_DEP_2)
	v_add_f64 v[114:115], v[82:83], v[118:119]
	v_fma_f64 v[24:25], v[24:25], s[14:15], v[110:111]
	v_add_f64 v[140:141], v[82:83], -v[118:119]
	v_fma_f64 v[82:83], v[98:99], s[14:15], v[132:133]
	v_fma_f64 v[98:99], v[126:127], s[12:13], v[136:137]
	s_delay_alu instid0(VALU_DEP_4) | instskip(SKIP_4) | instid1(VALU_DEP_3)
	v_add_f64 v[116:117], v[96:97], v[24:25]
	v_add_f64 v[142:143], v[96:97], -v[24:25]
	v_fma_f64 v[24:25], v[128:129], s[14:15], v[212:213]
	v_fma_f64 v[96:97], v[100:101], s[12:13], v[134:135]
	;; [unrolled: 1-line block ×4, first 2 shown]
	s_delay_alu instid0(VALU_DEP_3) | instskip(SKIP_1) | instid1(VALU_DEP_4)
	v_fma_f64 v[84:85], v[90:91], s[2:3], v[96:97]
	v_fma_f64 v[90:91], v[120:121], s[2:3], v[98:99]
	;; [unrolled: 1-line block ×3, first 2 shown]
	s_delay_alu instid0(VALU_DEP_4) | instskip(NEXT) | instid1(VALU_DEP_4)
	v_fma_f64 v[24:25], v[46:47], s[16:17], v[24:25]
	v_fma_f64 v[36:37], v[36:37], s[16:17], v[84:85]
	s_delay_alu instid0(VALU_DEP_4) | instskip(NEXT) | instid1(VALU_DEP_3)
	v_fma_f64 v[46:47], v[56:57], s[16:17], v[90:91]
	v_mul_f64 v[56:57], v[24:25], s[20:21]
	s_delay_alu instid0(VALU_DEP_1) | instskip(SKIP_1) | instid1(VALU_DEP_2)
	v_fma_f64 v[56:57], v[46:47], s[2:3], v[56:57]
	v_mul_f64 v[46:47], v[46:47], s[20:21]
	v_add_f64 v[82:83], v[34:35], v[56:57]
	s_delay_alu instid0(VALU_DEP_2) | instskip(SKIP_2) | instid1(VALU_DEP_1)
	v_fma_f64 v[24:25], v[24:25], s[8:9], v[46:47]
	v_add_f64 v[96:97], v[34:35], -v[56:57]
	v_add_co_u32 v34, null, 0x64, v17
	v_mul_u32_u24_e32 v16, 10, v34
	s_delay_alu instid0(VALU_DEP_1)
	v_lshlrev_b32_e32 v194, 4, v16
	ds_store_b128 v194, v[8:11]
	ds_store_b128 v194, v[26:29] offset:16
	ds_store_b128 v194, v[58:61] offset:32
	;; [unrolled: 1-line block ×9, first 2 shown]
	v_mul_u32_u24_e32 v4, 10, v50
	s_delay_alu instid0(VALU_DEP_1)
	v_lshlrev_b32_e32 v249, 4, v4
	v_add_f64 v[84:85], v[36:37], v[24:25]
	v_add_f64 v[98:99], v[36:37], -v[24:25]
	ds_store_b128 v249, v[0:3]
	ds_store_b128 v249, v[70:73] offset:16
	ds_store_b128 v249, v[102:105] offset:32
	;; [unrolled: 1-line block ×9, first 2 shown]
	v_and_b32_e32 v14, 0xff, v131
	v_mov_b32_e32 v24, v17
	s_waitcnt lgkmcnt(0)
	s_barrier
	buffer_gl0_inv
	v_mul_lo_u16 v0, 0xcd, v14
	s_delay_alu instid0(VALU_DEP_1) | instskip(NEXT) | instid1(VALU_DEP_1)
	v_lshrrev_b16 v17, 11, v0
	v_mul_lo_u16 v0, v17, 10
	v_and_b32_e32 v17, 0xffff, v17
	s_delay_alu instid0(VALU_DEP_2) | instskip(NEXT) | instid1(VALU_DEP_2)
	v_sub_nc_u16 v0, v131, v0
	v_mul_u32_u24_e32 v17, 30, v17
	s_delay_alu instid0(VALU_DEP_2)
	v_and_b32_e32 v18, 0xff, v0
	ds_load_b128 v[0:3], v124 offset:16000
	v_lshlrev_b32_e32 v8, 5, v18
	v_add_lshl_u32 v17, v17, v18, 4
	global_load_b128 v[9:12], v8, s[10:11]
	scratch_store_b32 off, v17, off offset:900 ; 4-byte Folded Spill
	s_waitcnt vmcnt(0) lgkmcnt(0)
	v_mul_f64 v[4:5], v[2:3], v[11:12]
	scratch_store_b128 off, v[9:12], off offset:488 ; 16-byte Folded Spill
	v_fma_f64 v[4:5], v[0:1], v[9:10], -v[4:5]
	v_mul_f64 v[0:1], v[0:1], v[11:12]
	s_delay_alu instid0(VALU_DEP_1)
	v_fma_f64 v[6:7], v[2:3], v[9:10], v[0:1]
	global_load_b128 v[10:13], v8, s[10:11] offset:16
	ds_load_b128 v[0:3], v124 offset:32000
	s_waitcnt vmcnt(0) lgkmcnt(0)
	v_mul_f64 v[8:9], v[2:3], v[12:13]
	scratch_store_b128 off, v[10:13], off offset:504 ; 16-byte Folded Spill
	v_fma_f64 v[8:9], v[0:1], v[10:11], -v[8:9]
	v_mul_f64 v[0:1], v[0:1], v[12:13]
	v_and_b32_e32 v13, 0xff, v34
	s_delay_alu instid0(VALU_DEP_2) | instskip(NEXT) | instid1(VALU_DEP_2)
	v_fma_f64 v[10:11], v[2:3], v[10:11], v[0:1]
	v_mul_lo_u16 v0, 0xcd, v13
	s_delay_alu instid0(VALU_DEP_1) | instskip(NEXT) | instid1(VALU_DEP_1)
	v_lshrrev_b16 v19, 11, v0
	v_mul_lo_u16 v0, v19, 10
	s_delay_alu instid0(VALU_DEP_1) | instskip(NEXT) | instid1(VALU_DEP_1)
	v_sub_nc_u16 v0, v34, v0
	v_and_b32_e32 v20, 0xff, v0
	ds_load_b128 v[0:3], v124 offset:17600
	v_lshlrev_b32_e32 v12, 5, v20
	global_load_b128 v[25:28], v12, s[10:11]
	s_waitcnt vmcnt(0) lgkmcnt(0)
	v_mul_f64 v[15:16], v[2:3], v[27:28]
	scratch_store_b128 off, v[25:28], off offset:520 ; 16-byte Folded Spill
	v_fma_f64 v[48:49], v[0:1], v[25:26], -v[15:16]
	v_mul_f64 v[0:1], v[0:1], v[27:28]
	s_delay_alu instid0(VALU_DEP_1)
	v_fma_f64 v[51:52], v[2:3], v[25:26], v[0:1]
	global_load_b128 v[25:28], v12, s[10:11] offset:16
	ds_load_b128 v[0:3], v124 offset:33600
	v_and_b32_e32 v12, 0xffff, v50
	s_waitcnt vmcnt(0) lgkmcnt(0)
	v_mul_f64 v[15:16], v[2:3], v[27:28]
	scratch_store_b128 off, v[25:28], off offset:536 ; 16-byte Folded Spill
	v_fma_f64 v[55:56], v[0:1], v[25:26], -v[15:16]
	v_mul_f64 v[0:1], v[0:1], v[27:28]
	s_delay_alu instid0(VALU_DEP_1) | instskip(SKIP_1) | instid1(VALU_DEP_1)
	v_fma_f64 v[53:54], v[2:3], v[25:26], v[0:1]
	v_mul_u32_u24_e32 v0, 0xcccd, v12
	v_lshrrev_b32_e32 v21, 19, v0
	s_delay_alu instid0(VALU_DEP_1) | instskip(NEXT) | instid1(VALU_DEP_1)
	v_mul_lo_u16 v0, v21, 10
	v_sub_nc_u16 v22, v50, v0
	s_delay_alu instid0(VALU_DEP_1) | instskip(NEXT) | instid1(VALU_DEP_1)
	v_lshlrev_b16 v0, 1, v22
	v_and_b32_e32 v0, 0xffff, v0
	s_delay_alu instid0(VALU_DEP_1)
	v_lshlrev_b32_e32 v23, 4, v0
	ds_load_b128 v[0:3], v124 offset:19200
	global_load_b128 v[25:28], v23, s[10:11]
	s_waitcnt vmcnt(0) lgkmcnt(0)
	v_mul_f64 v[15:16], v[2:3], v[27:28]
	scratch_store_b128 off, v[25:28], off offset:552 ; 16-byte Folded Spill
	v_fma_f64 v[67:68], v[0:1], v[25:26], -v[15:16]
	v_mul_f64 v[0:1], v[0:1], v[27:28]
	s_delay_alu instid0(VALU_DEP_1)
	v_fma_f64 v[63:64], v[2:3], v[25:26], v[0:1]
	global_load_b128 v[25:28], v23, s[10:11] offset:16
	ds_load_b128 v[0:3], v124 offset:35200
	s_waitcnt vmcnt(0) lgkmcnt(0)
	v_mul_f64 v[15:16], v[2:3], v[27:28]
	scratch_store_b128 off, v[25:28], off offset:568 ; 16-byte Folded Spill
	v_fma_f64 v[69:70], v[0:1], v[25:26], -v[15:16]
	v_mul_f64 v[0:1], v[0:1], v[27:28]
	s_delay_alu instid0(VALU_DEP_1) | instskip(SKIP_1) | instid1(VALU_DEP_1)
	v_fma_f64 v[65:66], v[2:3], v[25:26], v[0:1]
	v_mov_b32_e32 v26, v24
	v_add_co_u32 v0, null, 0x12c, v26
	s_delay_alu instid0(VALU_DEP_1) | instskip(NEXT) | instid1(VALU_DEP_1)
	v_and_b32_e32 v1, 0xffff, v0
	v_mul_u32_u24_e32 v1, 0xcccd, v1
	s_delay_alu instid0(VALU_DEP_1) | instskip(NEXT) | instid1(VALU_DEP_1)
	v_lshrrev_b32_e32 v23, 19, v1
	v_mul_lo_u16 v1, v23, 10
	s_delay_alu instid0(VALU_DEP_1) | instskip(NEXT) | instid1(VALU_DEP_1)
	v_sub_nc_u16 v24, v0, v1
	v_lshlrev_b16 v0, 1, v24
	s_delay_alu instid0(VALU_DEP_1) | instskip(NEXT) | instid1(VALU_DEP_1)
	v_and_b32_e32 v0, 0xffff, v0
	v_lshlrev_b32_e32 v25, 4, v0
	ds_load_b128 v[0:3], v124 offset:20800
	global_load_b128 v[27:30], v25, s[10:11]
	s_waitcnt vmcnt(0) lgkmcnt(0)
	v_mul_f64 v[15:16], v[2:3], v[29:30]
	scratch_store_b128 off, v[27:30], off offset:584 ; 16-byte Folded Spill
	v_fma_f64 v[79:80], v[0:1], v[27:28], -v[15:16]
	v_mul_f64 v[0:1], v[0:1], v[29:30]
	s_delay_alu instid0(VALU_DEP_1)
	v_fma_f64 v[75:76], v[2:3], v[27:28], v[0:1]
	global_load_b128 v[27:30], v25, s[10:11] offset:16
	ds_load_b128 v[0:3], v124 offset:36800
	s_waitcnt vmcnt(0) lgkmcnt(0)
	v_mul_f64 v[15:16], v[2:3], v[29:30]
	scratch_store_b128 off, v[27:30], off offset:600 ; 16-byte Folded Spill
	v_fma_f64 v[81:82], v[0:1], v[27:28], -v[15:16]
	v_mul_f64 v[0:1], v[0:1], v[29:30]
	s_delay_alu instid0(VALU_DEP_1) | instskip(SKIP_1) | instid1(VALU_DEP_1)
	v_fma_f64 v[77:78], v[2:3], v[27:28], v[0:1]
	v_add_co_u32 v0, null, 0x190, v26
	v_dual_mov_b32 v28, v26 :: v_dual_and_b32 v1, 0xffff, v0
	s_delay_alu instid0(VALU_DEP_1) | instskip(NEXT) | instid1(VALU_DEP_1)
	v_mul_u32_u24_e32 v1, 0xcccd, v1
	v_lshrrev_b32_e32 v25, 19, v1
	s_delay_alu instid0(VALU_DEP_1) | instskip(NEXT) | instid1(VALU_DEP_1)
	v_mul_lo_u16 v1, v25, 10
	v_sub_nc_u16 v26, v0, v1
	s_delay_alu instid0(VALU_DEP_1) | instskip(NEXT) | instid1(VALU_DEP_1)
	v_lshlrev_b16 v0, 1, v26
	v_and_b32_e32 v0, 0xffff, v0
	s_delay_alu instid0(VALU_DEP_1)
	v_lshlrev_b32_e32 v27, 4, v0
	ds_load_b128 v[0:3], v124 offset:22400
	global_load_b128 v[29:32], v27, s[10:11]
	s_waitcnt vmcnt(0) lgkmcnt(0)
	v_mul_f64 v[15:16], v[2:3], v[31:32]
	scratch_store_b128 off, v[29:32], off offset:616 ; 16-byte Folded Spill
	v_fma_f64 v[91:92], v[0:1], v[29:30], -v[15:16]
	v_mul_f64 v[0:1], v[0:1], v[31:32]
	s_delay_alu instid0(VALU_DEP_1)
	v_fma_f64 v[87:88], v[2:3], v[29:30], v[0:1]
	global_load_b128 v[29:32], v27, s[10:11] offset:16
	ds_load_b128 v[0:3], v124 offset:38400
	s_waitcnt vmcnt(0) lgkmcnt(0)
	v_mul_f64 v[15:16], v[2:3], v[31:32]
	scratch_store_b128 off, v[29:32], off offset:632 ; 16-byte Folded Spill
	v_fma_f64 v[93:94], v[0:1], v[29:30], -v[15:16]
	v_mul_f64 v[0:1], v[0:1], v[31:32]
	s_delay_alu instid0(VALU_DEP_1) | instskip(SKIP_1) | instid1(VALU_DEP_1)
	v_fma_f64 v[89:90], v[2:3], v[29:30], v[0:1]
	v_add_co_u32 v0, null, 0x1f4, v28
	v_dual_mov_b32 v30, v28 :: v_dual_and_b32 v1, 0xffff, v0
	s_delay_alu instid0(VALU_DEP_1) | instskip(NEXT) | instid1(VALU_DEP_2)
	v_mov_b32_e32 v32, v30
	v_mul_u32_u24_e32 v1, 0xcccd, v1
	s_delay_alu instid0(VALU_DEP_1) | instskip(NEXT) | instid1(VALU_DEP_1)
	v_lshrrev_b32_e32 v27, 19, v1
	v_mul_lo_u16 v1, v27, 10
	s_delay_alu instid0(VALU_DEP_1) | instskip(NEXT) | instid1(VALU_DEP_1)
	v_sub_nc_u16 v28, v0, v1
	v_lshlrev_b16 v0, 1, v28
	s_delay_alu instid0(VALU_DEP_1) | instskip(NEXT) | instid1(VALU_DEP_1)
	v_and_b32_e32 v0, 0xffff, v0
	v_lshlrev_b32_e32 v29, 4, v0
	ds_load_b128 v[0:3], v124 offset:24000
	global_load_b128 v[35:38], v29, s[10:11]
	s_waitcnt vmcnt(0) lgkmcnt(0)
	v_mul_f64 v[15:16], v[2:3], v[37:38]
	scratch_store_b128 off, v[35:38], off offset:648 ; 16-byte Folded Spill
	v_fma_f64 v[103:104], v[0:1], v[35:36], -v[15:16]
	v_mul_f64 v[0:1], v[0:1], v[37:38]
	s_delay_alu instid0(VALU_DEP_1)
	v_fma_f64 v[99:100], v[2:3], v[35:36], v[0:1]
	global_load_b128 v[35:38], v29, s[10:11] offset:16
	ds_load_b128 v[0:3], v124 offset:40000
	s_waitcnt vmcnt(0) lgkmcnt(0)
	v_mul_f64 v[15:16], v[2:3], v[37:38]
	scratch_store_b128 off, v[35:38], off offset:664 ; 16-byte Folded Spill
	v_fma_f64 v[105:106], v[0:1], v[35:36], -v[15:16]
	v_mul_f64 v[0:1], v[0:1], v[37:38]
	s_delay_alu instid0(VALU_DEP_1) | instskip(SKIP_1) | instid1(VALU_DEP_1)
	v_fma_f64 v[101:102], v[2:3], v[35:36], v[0:1]
	v_add_co_u32 v0, null, 0x258, v30
	v_and_b32_e32 v1, 0xffff, v0
	s_delay_alu instid0(VALU_DEP_1) | instskip(NEXT) | instid1(VALU_DEP_1)
	v_mul_u32_u24_e32 v1, 0xcccd, v1
	v_lshrrev_b32_e32 v29, 19, v1
	s_delay_alu instid0(VALU_DEP_1) | instskip(NEXT) | instid1(VALU_DEP_1)
	v_mul_lo_u16 v1, v29, 10
	v_sub_nc_u16 v30, v0, v1
	s_delay_alu instid0(VALU_DEP_1) | instskip(NEXT) | instid1(VALU_DEP_1)
	v_lshlrev_b16 v0, 1, v30
	v_and_b32_e32 v0, 0xffff, v0
	s_delay_alu instid0(VALU_DEP_1)
	v_lshlrev_b32_e32 v31, 4, v0
	ds_load_b128 v[0:3], v124 offset:25600
	global_load_b128 v[35:38], v31, s[10:11]
	s_waitcnt vmcnt(0) lgkmcnt(0)
	v_mul_f64 v[15:16], v[2:3], v[37:38]
	scratch_store_b128 off, v[35:38], off offset:680 ; 16-byte Folded Spill
	v_fma_f64 v[115:116], v[0:1], v[35:36], -v[15:16]
	v_mul_f64 v[0:1], v[0:1], v[37:38]
	s_delay_alu instid0(VALU_DEP_1)
	v_fma_f64 v[111:112], v[2:3], v[35:36], v[0:1]
	global_load_b128 v[35:38], v31, s[10:11] offset:16
	ds_load_b128 v[0:3], v124 offset:41600
	s_waitcnt vmcnt(0) lgkmcnt(0)
	v_mul_f64 v[15:16], v[2:3], v[37:38]
	scratch_store_b128 off, v[35:38], off offset:696 ; 16-byte Folded Spill
	v_fma_f64 v[117:118], v[0:1], v[35:36], -v[15:16]
	v_mul_f64 v[0:1], v[0:1], v[37:38]
	s_delay_alu instid0(VALU_DEP_1) | instskip(SKIP_2) | instid1(VALU_DEP_2)
	v_fma_f64 v[113:114], v[2:3], v[35:36], v[0:1]
	v_add_co_u32 v0, null, 0x2bc, v32
	v_mov_b32_e32 v35, v32
	v_and_b32_e32 v1, 0xffff, v0
	s_delay_alu instid0(VALU_DEP_1) | instskip(NEXT) | instid1(VALU_DEP_1)
	v_mul_u32_u24_e32 v1, 0xcccd, v1
	v_lshrrev_b32_e32 v31, 19, v1
	s_delay_alu instid0(VALU_DEP_1) | instskip(NEXT) | instid1(VALU_DEP_1)
	v_mul_lo_u16 v1, v31, 10
	v_sub_nc_u16 v32, v0, v1
	s_delay_alu instid0(VALU_DEP_1) | instskip(NEXT) | instid1(VALU_DEP_1)
	v_lshlrev_b16 v0, 1, v32
	v_and_b32_e32 v0, 0xffff, v0
	s_delay_alu instid0(VALU_DEP_1)
	v_lshlrev_b32_e32 v33, 4, v0
	ds_load_b128 v[0:3], v124 offset:27200
	global_load_b128 v[36:39], v33, s[10:11]
	s_waitcnt vmcnt(0) lgkmcnt(0)
	v_mul_f64 v[15:16], v[2:3], v[38:39]
	scratch_store_b128 off, v[36:39], off offset:712 ; 16-byte Folded Spill
	v_fma_f64 v[132:133], v[0:1], v[36:37], -v[15:16]
	v_mul_f64 v[0:1], v[0:1], v[38:39]
	s_delay_alu instid0(VALU_DEP_1)
	v_fma_f64 v[126:127], v[2:3], v[36:37], v[0:1]
	global_load_b128 v[36:39], v33, s[10:11] offset:16
	ds_load_b128 v[0:3], v124 offset:43200
	s_waitcnt vmcnt(0) lgkmcnt(0)
	v_mul_f64 v[15:16], v[2:3], v[38:39]
	scratch_store_b128 off, v[36:39], off offset:728 ; 16-byte Folded Spill
	v_fma_f64 v[134:135], v[0:1], v[36:37], -v[15:16]
	v_mul_f64 v[0:1], v[0:1], v[38:39]
	s_delay_alu instid0(VALU_DEP_1) | instskip(SKIP_2) | instid1(VALU_DEP_1)
	v_fma_f64 v[128:129], v[2:3], v[36:37], v[0:1]
	v_add_co_u32 v0, null, 0x320, v35
	v_mov_b32_e32 v37, v35
	v_dual_mov_b32 v166, v37 :: v_dual_and_b32 v1, 0xffff, v0
	s_delay_alu instid0(VALU_DEP_1) | instskip(NEXT) | instid1(VALU_DEP_1)
	v_mul_u32_u24_e32 v1, 0xcccd, v1
	v_lshrrev_b32_e32 v33, 19, v1
	s_delay_alu instid0(VALU_DEP_1) | instskip(NEXT) | instid1(VALU_DEP_1)
	v_mul_lo_u16 v1, v33, 10
	v_sub_nc_u16 v35, v0, v1
	s_delay_alu instid0(VALU_DEP_1) | instskip(NEXT) | instid1(VALU_DEP_1)
	v_lshlrev_b16 v0, 1, v35
	v_and_b32_e32 v0, 0xffff, v0
	s_delay_alu instid0(VALU_DEP_1)
	v_lshlrev_b32_e32 v36, 4, v0
	ds_load_b128 v[0:3], v124 offset:28800
	global_load_b128 v[38:41], v36, s[10:11]
	s_waitcnt vmcnt(0) lgkmcnt(0)
	v_mul_f64 v[15:16], v[2:3], v[40:41]
	scratch_store_b128 off, v[38:41], off offset:744 ; 16-byte Folded Spill
	v_fma_f64 v[140:141], v[0:1], v[38:39], -v[15:16]
	v_mul_f64 v[0:1], v[0:1], v[40:41]
	s_delay_alu instid0(VALU_DEP_1)
	v_fma_f64 v[142:143], v[2:3], v[38:39], v[0:1]
	global_load_b128 v[38:41], v36, s[10:11] offset:16
	ds_load_b128 v[0:3], v124 offset:44800
	s_waitcnt vmcnt(0) lgkmcnt(0)
	v_mul_f64 v[15:16], v[2:3], v[40:41]
	scratch_store_b128 off, v[38:41], off offset:760 ; 16-byte Folded Spill
	v_fma_f64 v[144:145], v[0:1], v[38:39], -v[15:16]
	v_mul_f64 v[0:1], v[0:1], v[40:41]
	s_delay_alu instid0(VALU_DEP_1) | instskip(SKIP_1) | instid1(VALU_DEP_1)
	v_fma_f64 v[146:147], v[2:3], v[38:39], v[0:1]
	v_add_co_u32 v0, null, 0x384, v37
	v_and_b32_e32 v1, 0xffff, v0
	s_delay_alu instid0(VALU_DEP_1) | instskip(NEXT) | instid1(VALU_DEP_1)
	v_mul_u32_u24_e32 v1, 0xcccd, v1
	v_lshrrev_b32_e32 v15, 19, v1
	s_delay_alu instid0(VALU_DEP_1) | instskip(NEXT) | instid1(VALU_DEP_1)
	v_mul_lo_u16 v1, v15, 10
	v_sub_nc_u16 v16, v0, v1
	s_delay_alu instid0(VALU_DEP_1) | instskip(NEXT) | instid1(VALU_DEP_1)
	v_lshlrev_b16 v0, 1, v16
	v_and_b32_e32 v0, 0xffff, v0
	s_delay_alu instid0(VALU_DEP_1)
	v_lshlrev_b32_e32 v38, 4, v0
	ds_load_b128 v[0:3], v124 offset:30400
	global_load_b128 v[39:42], v38, s[10:11]
	s_waitcnt vmcnt(0) lgkmcnt(0)
	v_mul_f64 v[36:37], v[2:3], v[41:42]
	scratch_store_b128 off, v[39:42], off offset:776 ; 16-byte Folded Spill
	v_fma_f64 v[148:149], v[0:1], v[39:40], -v[36:37]
	v_mul_f64 v[0:1], v[0:1], v[41:42]
	s_delay_alu instid0(VALU_DEP_1)
	v_fma_f64 v[150:151], v[2:3], v[39:40], v[0:1]
	global_load_b128 v[38:41], v38, s[10:11] offset:16
	ds_load_b128 v[0:3], v124 offset:46400
	s_waitcnt vmcnt(0) lgkmcnt(0)
	v_mul_f64 v[36:37], v[2:3], v[40:41]
	scratch_store_b128 off, v[38:41], off offset:792 ; 16-byte Folded Spill
	v_fma_f64 v[152:153], v[0:1], v[38:39], -v[36:37]
	v_mul_f64 v[0:1], v[0:1], v[40:41]
	v_add_f64 v[36:37], v[4:5], v[8:9]
	s_delay_alu instid0(VALU_DEP_2)
	v_fma_f64 v[154:155], v[2:3], v[38:39], v[0:1]
	ds_load_b128 v[0:3], v124
	s_waitcnt lgkmcnt(0)
	v_fma_f64 v[42:43], v[36:37], -0.5, v[0:1]
	v_add_f64 v[36:37], v[6:7], v[10:11]
	v_add_f64 v[0:1], v[0:1], v[4:5]
	s_delay_alu instid0(VALU_DEP_2) | instskip(SKIP_2) | instid1(VALU_DEP_4)
	v_fma_f64 v[46:47], v[36:37], -0.5, v[2:3]
	v_add_f64 v[2:3], v[2:3], v[6:7]
	v_add_f64 v[6:7], v[6:7], -v[10:11]
	v_add_f64 v[36:37], v[0:1], v[8:9]
	v_add_f64 v[0:1], v[4:5], -v[8:9]
	;; [unrolled: 2-line block ×3, first 2 shown]
	v_add_f64 v[38:39], v[2:3], v[10:11]
	v_fma_f64 v[40:41], v[6:7], s[24:25], v[42:43]
	v_fma_f64 v[44:45], v[6:7], s[26:27], v[42:43]
	v_fma_f64 v[42:43], v[0:1], s[26:27], v[46:47]
	v_fma_f64 v[46:47], v[0:1], s[24:25], v[46:47]
	ds_load_b128 v[0:3], v124 offset:1600
	v_add_f64 v[6:7], v[51:52], v[53:54]
	v_add_f64 v[10:11], v[142:143], -v[146:147]
	s_waitcnt lgkmcnt(0)
	v_fma_f64 v[4:5], v[4:5], -0.5, v[0:1]
	v_add_f64 v[0:1], v[0:1], v[48:49]
	s_delay_alu instid0(VALU_DEP_4) | instskip(SKIP_1) | instid1(VALU_DEP_4)
	v_fma_f64 v[6:7], v[6:7], -0.5, v[2:3]
	v_add_f64 v[2:3], v[2:3], v[51:52]
	v_fma_f64 v[59:60], v[8:9], s[26:27], v[4:5]
	s_delay_alu instid0(VALU_DEP_4)
	v_add_f64 v[51:52], v[0:1], v[55:56]
	v_add_f64 v[0:1], v[48:49], -v[55:56]
	v_fma_f64 v[55:56], v[8:9], s[24:25], v[4:5]
	v_add_f64 v[4:5], v[67:68], v[69:70]
	v_add_f64 v[8:9], v[63:64], -v[65:66]
	v_add_f64 v[48:49], v[140:141], -v[144:145]
	v_add_f64 v[53:54], v[2:3], v[53:54]
	v_fma_f64 v[57:58], v[0:1], s[26:27], v[6:7]
	v_fma_f64 v[61:62], v[0:1], s[24:25], v[6:7]
	ds_load_b128 v[0:3], v124 offset:3200
	v_add_f64 v[6:7], v[63:64], v[65:66]
	s_waitcnt lgkmcnt(0)
	v_fma_f64 v[4:5], v[4:5], -0.5, v[0:1]
	v_add_f64 v[0:1], v[0:1], v[67:68]
	s_delay_alu instid0(VALU_DEP_3) | instskip(SKIP_1) | instid1(VALU_DEP_4)
	v_fma_f64 v[6:7], v[6:7], -0.5, v[2:3]
	v_add_f64 v[2:3], v[2:3], v[63:64]
	v_fma_f64 v[71:72], v[8:9], s[26:27], v[4:5]
	s_delay_alu instid0(VALU_DEP_4)
	v_add_f64 v[63:64], v[0:1], v[69:70]
	v_add_f64 v[0:1], v[67:68], -v[69:70]
	v_fma_f64 v[67:68], v[8:9], s[24:25], v[4:5]
	v_add_f64 v[4:5], v[79:80], v[81:82]
	v_add_f64 v[8:9], v[75:76], -v[77:78]
	v_add_f64 v[65:66], v[2:3], v[65:66]
	v_fma_f64 v[69:70], v[0:1], s[26:27], v[6:7]
	v_fma_f64 v[73:74], v[0:1], s[24:25], v[6:7]
	ds_load_b128 v[0:3], v124 offset:4800
	v_add_f64 v[6:7], v[75:76], v[77:78]
	s_waitcnt lgkmcnt(0)
	v_fma_f64 v[4:5], v[4:5], -0.5, v[0:1]
	v_add_f64 v[0:1], v[0:1], v[79:80]
	s_delay_alu instid0(VALU_DEP_3) | instskip(SKIP_1) | instid1(VALU_DEP_4)
	v_fma_f64 v[6:7], v[6:7], -0.5, v[2:3]
	v_add_f64 v[2:3], v[2:3], v[75:76]
	v_fma_f64 v[83:84], v[8:9], s[26:27], v[4:5]
	s_delay_alu instid0(VALU_DEP_4)
	v_add_f64 v[75:76], v[0:1], v[81:82]
	v_add_f64 v[0:1], v[79:80], -v[81:82]
	v_fma_f64 v[79:80], v[8:9], s[24:25], v[4:5]
	v_add_f64 v[4:5], v[91:92], v[93:94]
	;; [unrolled: 18-line block ×5, first 2 shown]
	v_add_f64 v[8:9], v[126:127], -v[128:129]
	v_add_f64 v[113:114], v[2:3], v[113:114]
	v_fma_f64 v[117:118], v[0:1], s[26:27], v[6:7]
	v_fma_f64 v[121:122], v[0:1], s[24:25], v[6:7]
	ds_load_b128 v[0:3], v124 offset:11200
	v_add_f64 v[6:7], v[126:127], v[128:129]
	s_waitcnt lgkmcnt(0)
	v_fma_f64 v[4:5], v[4:5], -0.5, v[0:1]
	v_add_f64 v[0:1], v[0:1], v[132:133]
	s_delay_alu instid0(VALU_DEP_3) | instskip(SKIP_1) | instid1(VALU_DEP_4)
	v_fma_f64 v[6:7], v[6:7], -0.5, v[2:3]
	v_add_f64 v[2:3], v[2:3], v[126:127]
	v_fma_f64 v[136:137], v[8:9], s[26:27], v[4:5]
	s_delay_alu instid0(VALU_DEP_4) | instskip(SKIP_4) | instid1(VALU_DEP_4)
	v_add_f64 v[126:127], v[0:1], v[134:135]
	v_add_f64 v[0:1], v[132:133], -v[134:135]
	v_fma_f64 v[132:133], v[8:9], s[24:25], v[4:5]
	v_add_f64 v[4:5], v[140:141], v[144:145]
	v_add_f64 v[128:129], v[2:3], v[128:129]
	v_fma_f64 v[134:135], v[0:1], s[26:27], v[6:7]
	v_fma_f64 v[138:139], v[0:1], s[24:25], v[6:7]
	v_add_f64 v[6:7], v[142:143], v[146:147]
	ds_load_b128 v[0:3], v124 offset:12800
	s_waitcnt lgkmcnt(0)
	v_fma_f64 v[4:5], v[4:5], -0.5, v[0:1]
	v_add_f64 v[0:1], v[0:1], v[140:141]
	v_fma_f64 v[6:7], v[6:7], -0.5, v[2:3]
	v_add_f64 v[2:3], v[2:3], v[142:143]
	ds_load_b128 v[140:143], v124 offset:14400
	s_waitcnt lgkmcnt(0)
	s_waitcnt_vscnt null, 0x0
	s_barrier
	buffer_gl0_inv
	ds_store_b128 v17, v[36:39]
	ds_store_b128 v17, v[40:43] offset:160
	ds_store_b128 v17, v[44:47] offset:320
	v_and_b32_e32 v17, 0xffff, v19
	s_delay_alu instid0(VALU_DEP_1) | instskip(NEXT) | instid1(VALU_DEP_1)
	v_mul_u32_u24_e32 v17, 30, v17
	v_add_lshl_u32 v17, v17, v20, 4
	v_fma_f64 v[8:9], v[10:11], s[24:25], v[4:5]
	scratch_store_b32 off, v17, off offset:896 ; 4-byte Folded Spill
	ds_store_b128 v17, v[51:54]
	ds_store_b128 v17, v[55:58] offset:160
	ds_store_b128 v17, v[59:62] offset:320
	v_mad_u16 v17, v21, 30, v22
	v_add_f64 v[0:1], v[0:1], v[144:145]
	v_fma_f64 v[4:5], v[10:11], s[26:27], v[4:5]
	v_add_f64 v[144:145], v[150:151], v[154:155]
	s_delay_alu instid0(VALU_DEP_4) | instskip(NEXT) | instid1(VALU_DEP_1)
	v_and_b32_e32 v17, 0xffff, v17
	v_lshlrev_b32_e32 v17, 4, v17
	v_fma_f64 v[10:11], v[48:49], s[26:27], v[6:7]
	scratch_store_b32 off, v17, off offset:892 ; 4-byte Folded Spill
	ds_store_b128 v17, v[63:66]
	ds_store_b128 v17, v[67:70] offset:160
	ds_store_b128 v17, v[71:74] offset:320
	v_mad_u16 v17, v23, 30, v24
	v_fma_f64 v[6:7], v[48:49], s[24:25], v[6:7]
	v_add_f64 v[48:49], v[148:149], v[152:153]
	v_add_f64 v[2:3], v[2:3], v[146:147]
	v_add_f64 v[146:147], v[150:151], -v[154:155]
	v_and_b32_e32 v17, 0xffff, v17
	s_delay_alu instid0(VALU_DEP_1)
	v_lshlrev_b32_e32 v17, 4, v17
	scratch_store_b32 off, v17, off offset:872 ; 4-byte Folded Spill
	ds_store_b128 v17, v[75:78]
	ds_store_b128 v17, v[79:82] offset:160
	ds_store_b128 v17, v[83:86] offset:320
	v_mad_u16 v17, v25, 30, v26
	s_delay_alu instid0(VALU_DEP_1) | instskip(SKIP_3) | instid1(VALU_DEP_4)
	v_and_b32_e32 v17, 0xffff, v17
	v_fma_f64 v[156:157], v[144:145], -0.5, v[142:143]
	v_add_f64 v[142:143], v[142:143], v[150:151]
	v_add_f64 v[150:151], v[148:149], -v[152:153]
	v_lshlrev_b32_e32 v17, 4, v17
	scratch_store_b32 off, v17, off offset:820 ; 4-byte Folded Spill
	ds_store_b128 v17, v[87:90]
	ds_store_b128 v17, v[91:94] offset:160
	ds_store_b128 v17, v[95:98] offset:320
	v_mad_u16 v17, v27, 30, v28
	s_delay_alu instid0(VALU_DEP_1) | instskip(SKIP_2) | instid1(VALU_DEP_3)
	v_and_b32_e32 v17, 0xffff, v17
	v_fma_f64 v[48:49], v[48:49], -0.5, v[140:141]
	v_add_f64 v[140:141], v[140:141], v[148:149]
	v_lshlrev_b32_e32 v17, 4, v17
	scratch_store_b32 off, v17, off offset:816 ; 4-byte Folded Spill
	ds_store_b128 v17, v[99:102]
	ds_store_b128 v17, v[103:106] offset:160
	ds_store_b128 v17, v[107:110] offset:320
	v_mad_u16 v17, v29, 30, v30
	s_delay_alu instid0(VALU_DEP_1) | instskip(NEXT) | instid1(VALU_DEP_1)
	v_and_b32_e32 v17, 0xffff, v17
	v_lshlrev_b32_e32 v17, 4, v17
	v_add_f64 v[142:143], v[142:143], v[154:155]
	scratch_store_b32 off, v17, off offset:812 ; 4-byte Folded Spill
	ds_store_b128 v17, v[111:114]
	ds_store_b128 v17, v[115:118] offset:160
	ds_store_b128 v17, v[119:122] offset:320
	v_mad_u16 v17, v31, 30, v32
	s_delay_alu instid0(VALU_DEP_1) | instskip(NEXT) | instid1(VALU_DEP_1)
	v_and_b32_e32 v17, 0xffff, v17
	v_lshlrev_b32_e32 v17, 4, v17
	v_add_f64 v[140:141], v[140:141], v[152:153]
	v_fma_f64 v[144:145], v[146:147], s[24:25], v[48:49]
	v_fma_f64 v[148:149], v[146:147], s[26:27], v[48:49]
	;; [unrolled: 1-line block ×3, first 2 shown]
	scratch_store_b32 off, v17, off offset:808 ; 4-byte Folded Spill
	ds_store_b128 v17, v[126:129]
	ds_store_b128 v17, v[132:135] offset:160
	ds_store_b128 v17, v[136:139] offset:320
	v_mad_u16 v17, v33, 30, v35
	v_fma_f64 v[150:151], v[150:151], s[24:25], v[156:157]
	s_delay_alu instid0(VALU_DEP_2) | instskip(NEXT) | instid1(VALU_DEP_1)
	v_and_b32_e32 v17, 0xffff, v17
	v_lshlrev_b32_e32 v17, 4, v17
	scratch_store_b32 off, v17, off offset:1224 ; 4-byte Folded Spill
	ds_store_b128 v17, v[0:3]
	ds_store_b128 v17, v[8:11] offset:160
	ds_store_b128 v17, v[4:7] offset:320
	v_mad_u16 v0, v15, 30, v16
	s_delay_alu instid0(VALU_DEP_1) | instskip(NEXT) | instid1(VALU_DEP_1)
	v_and_b32_e32 v0, 0xffff, v0
	v_lshlrev_b32_e32 v221, 4, v0
	v_mul_lo_u16 v0, 0x89, v14
	ds_store_b128 v221, v[140:143]
	ds_store_b128 v221, v[144:147] offset:160
	ds_store_b128 v221, v[148:151] offset:320
	v_lshrrev_b16 v155, 12, v0
	s_waitcnt lgkmcnt(0)
	s_waitcnt_vscnt null, 0x0
	s_barrier
	buffer_gl0_inv
	v_mul_lo_u16 v0, v155, 30
	v_and_b32_e32 v155, 0xffff, v155
	s_delay_alu instid0(VALU_DEP_2) | instskip(NEXT) | instid1(VALU_DEP_2)
	v_sub_nc_u16 v0, v131, v0
	v_mul_u32_u24_e32 v155, 0x12c, v155
	s_delay_alu instid0(VALU_DEP_2)
	v_and_b32_e32 v157, 0xff, v0
	ds_load_b128 v[0:3], v124 offset:4800
	v_mad_u64_u32 v[4:5], null, 0x90, v157, s[10:11]
	v_add_lshl_u32 v204, v155, v157, 4
	global_load_b128 v[8:11], v[4:5], off offset:320
	s_waitcnt vmcnt(0) lgkmcnt(0)
	v_mul_f64 v[6:7], v[2:3], v[10:11]
	scratch_store_b128 off, v[8:11], off offset:824 ; 16-byte Folded Spill
	v_fma_f64 v[16:17], v[0:1], v[8:9], -v[6:7]
	v_mul_f64 v[0:1], v[0:1], v[10:11]
	s_delay_alu instid0(VALU_DEP_1)
	v_fma_f64 v[18:19], v[2:3], v[8:9], v[0:1]
	global_load_b128 v[8:11], v[4:5], off offset:336
	ds_load_b128 v[0:3], v124 offset:9600
	s_waitcnt vmcnt(0) lgkmcnt(0)
	v_mul_f64 v[6:7], v[2:3], v[10:11]
	scratch_store_b128 off, v[8:11], off offset:840 ; 16-byte Folded Spill
	v_fma_f64 v[20:21], v[0:1], v[8:9], -v[6:7]
	v_mul_f64 v[0:1], v[0:1], v[10:11]
	s_delay_alu instid0(VALU_DEP_1)
	v_fma_f64 v[22:23], v[2:3], v[8:9], v[0:1]
	global_load_b128 v[8:11], v[4:5], off offset:352
	ds_load_b128 v[0:3], v124 offset:14400
	;; [unrolled: 9-line block ×3, first 2 shown]
	s_waitcnt vmcnt(0) lgkmcnt(0)
	v_mul_f64 v[6:7], v[2:3], v[10:11]
	scratch_store_b128 off, v[8:11], off offset:876 ; 16-byte Folded Spill
	v_fma_f64 v[30:31], v[0:1], v[8:9], -v[6:7]
	v_mul_f64 v[0:1], v[0:1], v[10:11]
	s_delay_alu instid0(VALU_DEP_2) | instskip(NEXT) | instid1(VALU_DEP_2)
	v_add_f64 v[155:156], v[20:21], -v[30:31]
	v_fma_f64 v[32:33], v[2:3], v[8:9], v[0:1]
	global_load_b128 v[8:11], v[4:5], off offset:384
	ds_load_b128 v[0:3], v124 offset:24000
	s_waitcnt vmcnt(0) lgkmcnt(0)
	v_mul_f64 v[6:7], v[2:3], v[10:11]
	scratch_store_b128 off, v[8:11], off offset:904 ; 16-byte Folded Spill
	v_fma_f64 v[48:49], v[0:1], v[8:9], -v[6:7]
	v_mul_f64 v[0:1], v[0:1], v[10:11]
	s_delay_alu instid0(VALU_DEP_1)
	v_fma_f64 v[46:47], v[2:3], v[8:9], v[0:1]
	global_load_b128 v[8:11], v[4:5], off offset:400
	ds_load_b128 v[0:3], v124 offset:28800
	s_waitcnt vmcnt(0) lgkmcnt(0)
	v_mul_f64 v[6:7], v[2:3], v[10:11]
	scratch_store_b128 off, v[8:11], off offset:920 ; 16-byte Folded Spill
	v_fma_f64 v[54:55], v[0:1], v[8:9], -v[6:7]
	v_mul_f64 v[0:1], v[0:1], v[10:11]
	s_delay_alu instid0(VALU_DEP_2) | instskip(NEXT) | instid1(VALU_DEP_2)
	v_add_f64 v[192:193], v[30:31], -v[54:55]
	v_fma_f64 v[56:57], v[2:3], v[8:9], v[0:1]
	global_load_b128 v[8:11], v[4:5], off offset:416
	ds_load_b128 v[0:3], v124 offset:33600
	v_add_f64 v[188:189], v[32:33], -v[56:57]
	s_waitcnt vmcnt(0) lgkmcnt(0)
	v_mul_f64 v[6:7], v[2:3], v[10:11]
	scratch_store_b128 off, v[8:11], off offset:936 ; 16-byte Folded Spill
	v_fma_f64 v[58:59], v[0:1], v[8:9], -v[6:7]
	v_mul_f64 v[0:1], v[0:1], v[10:11]
	s_delay_alu instid0(VALU_DEP_2) | instskip(NEXT) | instid1(VALU_DEP_2)
	v_add_f64 v[180:181], v[48:49], -v[58:59]
	v_fma_f64 v[24:25], v[2:3], v[8:9], v[0:1]
	global_load_b128 v[8:11], v[4:5], off offset:432
	ds_load_b128 v[0:3], v124 offset:38400
	v_add_f64 v[184:185], v[46:47], -v[24:25]
	;; [unrolled: 11-line block ×3, first 2 shown]
	s_waitcnt vmcnt(0) lgkmcnt(0)
	v_mul_f64 v[4:5], v[2:3], v[8:9]
	scratch_store_b128 off, v[6:9], off offset:968 ; 16-byte Folded Spill
	v_fma_f64 v[94:95], v[0:1], v[6:7], -v[4:5]
	v_mul_f64 v[0:1], v[0:1], v[8:9]
	s_delay_alu instid0(VALU_DEP_2) | instskip(NEXT) | instid1(VALU_DEP_2)
	v_add_f64 v[178:179], v[28:29], -v[94:95]
	v_fma_f64 v[92:93], v[2:3], v[6:7], v[0:1]
	v_mul_lo_u16 v0, 0x89, v13
	s_delay_alu instid0(VALU_DEP_1) | instskip(NEXT) | instid1(VALU_DEP_1)
	v_lshrrev_b16 v131, 12, v0
	v_mul_lo_u16 v0, v131, 30
	s_delay_alu instid0(VALU_DEP_1) | instskip(NEXT) | instid1(VALU_DEP_1)
	v_sub_nc_u16 v0, v34, v0
	v_and_b32_e32 v152, 0xff, v0
	ds_load_b128 v[0:3], v124 offset:6400
	v_mad_u64_u32 v[4:5], null, 0x90, v152, s[10:11]
	global_load_b128 v[8:11], v[4:5], off offset:320
	v_add_f64 v[182:183], v[26:27], -v[92:93]
	s_waitcnt vmcnt(0) lgkmcnt(0)
	v_mul_f64 v[6:7], v[2:3], v[10:11]
	scratch_store_b128 off, v[8:11], off offset:984 ; 16-byte Folded Spill
	v_fma_f64 v[34:35], v[0:1], v[8:9], -v[6:7]
	v_mul_f64 v[0:1], v[0:1], v[10:11]
	s_delay_alu instid0(VALU_DEP_1)
	v_fma_f64 v[36:37], v[2:3], v[8:9], v[0:1]
	global_load_b128 v[8:11], v[4:5], off offset:336
	ds_load_b128 v[0:3], v124 offset:11200
	s_waitcnt vmcnt(0) lgkmcnt(0)
	v_mul_f64 v[6:7], v[2:3], v[10:11]
	scratch_store_b128 off, v[8:11], off offset:1000 ; 16-byte Folded Spill
	v_fma_f64 v[38:39], v[0:1], v[8:9], -v[6:7]
	v_mul_f64 v[0:1], v[0:1], v[10:11]
	s_delay_alu instid0(VALU_DEP_1)
	v_fma_f64 v[40:41], v[2:3], v[8:9], v[0:1]
	global_load_b128 v[8:11], v[4:5], off offset:352
	ds_load_b128 v[0:3], v124 offset:16000
	;; [unrolled: 9-line block ×8, first 2 shown]
	s_waitcnt vmcnt(0) lgkmcnt(0)
	v_mul_f64 v[4:5], v[2:3], v[8:9]
	scratch_store_b128 off, v[6:9], off offset:1112 ; 16-byte Folded Spill
	v_fma_f64 v[106:107], v[0:1], v[6:7], -v[4:5]
	v_mul_f64 v[0:1], v[0:1], v[8:9]
	s_delay_alu instid0(VALU_DEP_1) | instskip(SKIP_1) | instid1(VALU_DEP_1)
	v_fma_f64 v[104:105], v[2:3], v[6:7], v[0:1]
	v_mul_u32_u24_e32 v0, 0x8889, v12
	v_lshrrev_b32_e32 v153, 20, v0
	s_delay_alu instid0(VALU_DEP_1) | instskip(NEXT) | instid1(VALU_DEP_1)
	v_mul_lo_u16 v0, v153, 30
	v_sub_nc_u16 v154, v50, v0
	s_delay_alu instid0(VALU_DEP_1) | instskip(NEXT) | instid1(VALU_DEP_1)
	v_mul_lo_u16 v0, 0x90, v154
	v_and_b32_e32 v0, 0xffff, v0
	s_delay_alu instid0(VALU_DEP_1) | instskip(NEXT) | instid1(VALU_DEP_1)
	v_add_co_u32 v4, s28, s10, v0
	v_add_co_ci_u32_e64 v5, null, s11, 0, s28
	ds_load_b128 v[0:3], v124 offset:8000
	global_load_b128 v[8:11], v[4:5], off offset:320
	s_waitcnt vmcnt(0) lgkmcnt(0)
	v_mul_f64 v[6:7], v[2:3], v[10:11]
	scratch_store_b128 off, v[8:11], off offset:1128 ; 16-byte Folded Spill
	v_fma_f64 v[50:51], v[0:1], v[8:9], -v[6:7]
	v_mul_f64 v[0:1], v[0:1], v[10:11]
	s_delay_alu instid0(VALU_DEP_1)
	v_fma_f64 v[52:53], v[2:3], v[8:9], v[0:1]
	global_load_b128 v[8:11], v[4:5], off offset:336
	ds_load_b128 v[0:3], v124 offset:12800
	s_waitcnt vmcnt(0) lgkmcnt(0)
	v_mul_f64 v[6:7], v[2:3], v[10:11]
	scratch_store_b128 off, v[8:11], off offset:1144 ; 16-byte Folded Spill
	v_fma_f64 v[64:65], v[0:1], v[8:9], -v[6:7]
	v_mul_f64 v[0:1], v[0:1], v[10:11]
	s_delay_alu instid0(VALU_DEP_1)
	v_fma_f64 v[66:67], v[2:3], v[8:9], v[0:1]
	global_load_b128 v[8:11], v[4:5], off offset:352
	ds_load_b128 v[0:3], v124 offset:17600
	;; [unrolled: 9-line block ×3, first 2 shown]
	v_add_f64 v[14:15], v[52:53], v[68:69]
	s_waitcnt vmcnt(0) lgkmcnt(0)
	v_mul_f64 v[6:7], v[2:3], v[10:11]
	scratch_store_b128 off, v[8:11], off offset:1176 ; 16-byte Folded Spill
	v_fma_f64 v[76:77], v[0:1], v[8:9], -v[6:7]
	v_mul_f64 v[0:1], v[0:1], v[10:11]
	s_delay_alu instid0(VALU_DEP_1)
	v_fma_f64 v[78:79], v[2:3], v[8:9], v[0:1]
	global_load_b128 v[8:11], v[4:5], off offset:384
	ds_load_b128 v[0:3], v124 offset:27200
	s_waitcnt vmcnt(0) lgkmcnt(0)
	v_mul_f64 v[6:7], v[2:3], v[10:11]
	scratch_store_b128 off, v[8:11], off offset:1192 ; 16-byte Folded Spill
	v_fma_f64 v[102:103], v[0:1], v[8:9], -v[6:7]
	v_mul_f64 v[0:1], v[0:1], v[10:11]
	s_delay_alu instid0(VALU_DEP_1)
	v_fma_f64 v[100:101], v[2:3], v[8:9], v[0:1]
	global_load_b128 v[8:11], v[4:5], off offset:400
	ds_load_b128 v[0:3], v124 offset:32000
	v_add_f64 v[14:15], v[14:15], v[100:101]
	s_waitcnt vmcnt(0) lgkmcnt(0)
	v_mul_f64 v[6:7], v[2:3], v[10:11]
	scratch_store_b128 off, v[8:11], off offset:1208 ; 16-byte Folded Spill
	v_fma_f64 v[108:109], v[0:1], v[8:9], -v[6:7]
	v_mul_f64 v[0:1], v[0:1], v[10:11]
	s_delay_alu instid0(VALU_DEP_2) | instskip(NEXT) | instid1(VALU_DEP_2)
	v_add_f64 v[12:13], v[76:77], v[108:109]
	v_fma_f64 v[110:111], v[2:3], v[8:9], v[0:1]
	global_load_b128 v[8:11], v[4:5], off offset:416
	ds_load_b128 v[0:3], v124 offset:36800
	s_waitcnt vmcnt(0) lgkmcnt(0)
	v_mul_f64 v[6:7], v[2:3], v[10:11]
	scratch_store_b128 off, v[8:11], off offset:1228 ; 16-byte Folded Spill
	v_fma_f64 v[114:115], v[0:1], v[8:9], -v[6:7]
	v_mul_f64 v[0:1], v[0:1], v[10:11]
	s_delay_alu instid0(VALU_DEP_1)
	v_fma_f64 v[112:113], v[2:3], v[8:9], v[0:1]
	global_load_b128 v[8:11], v[4:5], off offset:432
	ds_load_b128 v[0:3], v124 offset:41600
	v_add_f64 v[14:15], v[14:15], v[112:113]
	s_waitcnt vmcnt(0) lgkmcnt(0)
	v_mul_f64 v[6:7], v[2:3], v[10:11]
	scratch_store_b128 off, v[8:11], off offset:1244 ; 16-byte Folded Spill
	v_fma_f64 v[116:117], v[0:1], v[8:9], -v[6:7]
	v_mul_f64 v[0:1], v[0:1], v[10:11]
	s_delay_alu instid0(VALU_DEP_1)
	v_fma_f64 v[118:119], v[2:3], v[8:9], v[0:1]
	global_load_b128 v[6:9], v[4:5], off offset:448
	ds_load_b128 v[0:3], v124 offset:46400
	s_waitcnt vmcnt(0) lgkmcnt(0)
	v_mul_f64 v[4:5], v[2:3], v[8:9]
	scratch_store_b128 off, v[6:9], off offset:1260 ; 16-byte Folded Spill
	v_fma_f64 v[122:123], v[0:1], v[6:7], -v[4:5]
	v_mul_f64 v[0:1], v[0:1], v[8:9]
	v_add_f64 v[4:5], v[30:31], v[54:55]
	s_delay_alu instid0(VALU_DEP_2)
	v_fma_f64 v[120:121], v[2:3], v[6:7], v[0:1]
	ds_load_b128 v[0:3], v124
	v_add_f64 v[6:7], v[18:19], v[26:27]
	s_waitcnt lgkmcnt(0)
	v_fma_f64 v[148:149], v[4:5], -0.5, v[0:1]
	v_add_f64 v[4:5], v[20:21], v[72:73]
	v_add_f64 v[14:15], v[14:15], v[120:121]
	s_delay_alu instid0(VALU_DEP_4) | instskip(NEXT) | instid1(VALU_DEP_3)
	v_add_f64 v[6:7], v[6:7], v[46:47]
	v_fma_f64 v[128:129], v[4:5], -0.5, v[0:1]
	v_add_f64 v[4:5], v[32:33], v[56:57]
	v_add_f64 v[0:1], v[0:1], v[20:21]
	v_add_f64 v[20:21], v[30:31], -v[20:21]
	v_add_f64 v[6:7], v[6:7], v[24:25]
	s_delay_alu instid0(VALU_DEP_4) | instskip(SKIP_4) | instid1(VALU_DEP_4)
	v_fma_f64 v[126:127], v[4:5], -0.5, v[2:3]
	v_add_f64 v[4:5], v[22:23], v[74:75]
	v_add_f64 v[0:1], v[0:1], v[30:31]
	v_add_f64 v[30:31], v[54:55], -v[72:73]
	v_add_f64 v[6:7], v[6:7], v[92:93]
	v_fma_f64 v[150:151], v[4:5], -0.5, v[2:3]
	v_add_f64 v[4:5], v[16:17], v[28:29]
	v_add_f64 v[2:3], v[2:3], v[22:23]
	;; [unrolled: 1-line block ×4, first 2 shown]
	s_delay_alu instid0(VALU_DEP_4) | instskip(NEXT) | instid1(VALU_DEP_4)
	v_add_f64 v[4:5], v[4:5], v[48:49]
	v_add_f64 v[2:3], v[2:3], v[32:33]
	s_delay_alu instid0(VALU_DEP_4) | instskip(NEXT) | instid1(VALU_DEP_3)
	v_add_f64 v[0:1], v[0:1], v[72:73]
	v_add_f64 v[4:5], v[4:5], v[58:59]
	s_delay_alu instid0(VALU_DEP_3) | instskip(NEXT) | instid1(VALU_DEP_2)
	v_add_f64 v[2:3], v[2:3], v[56:57]
	v_add_f64 v[4:5], v[4:5], v[94:95]
	s_delay_alu instid0(VALU_DEP_2) | instskip(NEXT) | instid1(VALU_DEP_2)
	v_add_f64 v[2:3], v[2:3], v[74:75]
	v_add_f64 v[158:159], v[0:1], v[4:5]
	v_add_f64 v[162:163], v[0:1], -v[4:5]
	v_add_f64 v[4:5], v[60:61], v[84:85]
	s_delay_alu instid0(VALU_DEP_4)
	v_add_f64 v[160:161], v[2:3], v[6:7]
	v_add_f64 v[164:165], v[2:3], -v[6:7]
	ds_load_b128 v[0:3], v124 offset:1600
	v_add_f64 v[6:7], v[36:37], v[42:43]
	s_waitcnt lgkmcnt(0)
	v_fma_f64 v[132:133], v[4:5], -0.5, v[0:1]
	v_add_f64 v[4:5], v[38:39], v[96:97]
	s_delay_alu instid0(VALU_DEP_3) | instskip(NEXT) | instid1(VALU_DEP_2)
	v_add_f64 v[6:7], v[6:7], v[80:81]
	v_fma_f64 v[136:137], v[4:5], -0.5, v[0:1]
	v_add_f64 v[4:5], v[62:63], v[86:87]
	v_add_f64 v[0:1], v[0:1], v[38:39]
	s_delay_alu instid0(VALU_DEP_4) | instskip(NEXT) | instid1(VALU_DEP_3)
	v_add_f64 v[6:7], v[6:7], v[88:89]
	v_fma_f64 v[134:135], v[4:5], -0.5, v[2:3]
	v_add_f64 v[4:5], v[40:41], v[98:99]
	s_delay_alu instid0(VALU_DEP_4) | instskip(NEXT) | instid1(VALU_DEP_4)
	v_add_f64 v[0:1], v[0:1], v[60:61]
	v_add_f64 v[6:7], v[6:7], v[104:105]
	s_delay_alu instid0(VALU_DEP_3) | instskip(SKIP_3) | instid1(VALU_DEP_3)
	v_fma_f64 v[138:139], v[4:5], -0.5, v[2:3]
	v_add_f64 v[2:3], v[2:3], v[40:41]
	v_add_f64 v[4:5], v[34:35], v[44:45]
	;; [unrolled: 1-line block ×4, first 2 shown]
	s_delay_alu instid0(VALU_DEP_3) | instskip(NEXT) | instid1(VALU_DEP_3)
	v_add_f64 v[4:5], v[4:5], v[82:83]
	v_add_f64 v[8:9], v[0:1], v[96:97]
	s_delay_alu instid0(VALU_DEP_3) | instskip(NEXT) | instid1(VALU_DEP_3)
	v_add_f64 v[2:3], v[2:3], v[86:87]
	v_add_f64 v[4:5], v[4:5], v[90:91]
	s_delay_alu instid0(VALU_DEP_2) | instskip(NEXT) | instid1(VALU_DEP_2)
	v_add_f64 v[10:11], v[2:3], v[98:99]
	v_add_f64 v[4:5], v[4:5], v[106:107]
	s_delay_alu instid0(VALU_DEP_2) | instskip(NEXT) | instid1(VALU_DEP_2)
	v_add_f64 v[2:3], v[10:11], v[6:7]
	v_add_f64 v[0:1], v[8:9], v[4:5]
	v_add_f64 v[4:5], v[8:9], -v[4:5]
	v_add_f64 v[6:7], v[10:11], -v[6:7]
	ds_load_b128 v[8:11], v124 offset:3200
	s_waitcnt lgkmcnt(0)
	s_waitcnt_vscnt null, 0x0
	s_barrier
	buffer_gl0_inv
	ds_store_b128 v204, v[158:161]
	ds_store_b128 v204, v[162:165] offset:2400
	v_add_f64 v[157:158], v[72:73], -v[54:55]
	v_add_f64 v[159:160], v[74:75], -v[56:57]
	v_add_f64 v[54:55], v[58:59], -v[94:95]
	v_fma_f64 v[140:141], v[12:13], -0.5, v[8:9]
	v_add_f64 v[12:13], v[64:65], v[116:117]
	v_add_f64 v[155:156], v[155:156], v[157:158]
	v_add_f64 v[157:158], v[22:23], -v[32:33]
	v_add_f64 v[22:23], v[32:33], -v[22:23]
	;; [unrolled: 1-line block ×3, first 2 shown]
	v_fma_f64 v[144:145], v[12:13], -0.5, v[8:9]
	v_add_f64 v[12:13], v[78:79], v[110:111]
	v_add_f64 v[8:9], v[8:9], v[64:65]
	s_delay_alu instid0(VALU_DEP_4) | instskip(NEXT) | instid1(VALU_DEP_3)
	v_add_f64 v[32:33], v[22:23], v[32:33]
	v_fma_f64 v[142:143], v[12:13], -0.5, v[10:11]
	v_add_f64 v[12:13], v[66:67], v[118:119]
	s_delay_alu instid0(VALU_DEP_4) | instskip(NEXT) | instid1(VALU_DEP_2)
	v_add_f64 v[8:9], v[8:9], v[76:77]
	v_fma_f64 v[146:147], v[12:13], -0.5, v[10:11]
	v_add_f64 v[12:13], v[50:51], v[70:71]
	v_add_f64 v[10:11], v[10:11], v[66:67]
	s_delay_alu instid0(VALU_DEP_4) | instskip(NEXT) | instid1(VALU_DEP_3)
	v_add_f64 v[8:9], v[8:9], v[108:109]
	v_add_f64 v[12:13], v[12:13], v[102:103]
	s_delay_alu instid0(VALU_DEP_3) | instskip(NEXT) | instid1(VALU_DEP_3)
	v_add_f64 v[10:11], v[10:11], v[78:79]
	v_add_f64 v[168:169], v[8:9], v[116:117]
	s_delay_alu instid0(VALU_DEP_3) | instskip(NEXT) | instid1(VALU_DEP_3)
	v_add_f64 v[12:13], v[12:13], v[114:115]
	v_add_f64 v[10:11], v[10:11], v[110:111]
	s_delay_alu instid0(VALU_DEP_2) | instskip(NEXT) | instid1(VALU_DEP_2)
	v_add_f64 v[12:13], v[12:13], v[122:123]
	v_add_f64 v[170:171], v[10:11], v[118:119]
	s_delay_alu instid0(VALU_DEP_2)
	v_add_f64 v[8:9], v[168:169], v[12:13]
	v_add_f64 v[12:13], v[168:169], -v[12:13]
	v_add_f64 v[168:169], v[157:158], v[159:160]
	v_add_f64 v[157:158], v[28:29], -v[48:49]
	v_add_f64 v[159:160], v[94:95], -v[58:59]
	v_add_f64 v[10:11], v[170:171], v[14:15]
	v_add_f64 v[14:15], v[170:171], -v[14:15]
	s_delay_alu instid0(VALU_DEP_3) | instskip(SKIP_2) | instid1(VALU_DEP_1)
	v_add_f64 v[170:171], v[157:158], v[159:160]
	v_add_f64 v[157:158], v[26:27], -v[46:47]
	v_add_f64 v[159:160], v[92:93], -v[24:25]
	v_add_f64 v[172:173], v[157:158], v[159:160]
	v_add_f64 v[157:158], v[48:49], v[58:59]
	v_add_f64 v[48:49], v[48:49], -v[28:29]
	v_add_f64 v[28:29], v[28:29], v[94:95]
	s_delay_alu instid0(VALU_DEP_3)
	v_fma_f64 v[174:175], v[157:158], -0.5, v[16:17]
	v_add_f64 v[157:158], v[46:47], v[24:25]
	v_add_f64 v[46:47], v[46:47], -v[26:27]
	v_add_f64 v[26:27], v[26:27], v[92:93]
	v_add_f64 v[24:25], v[24:25], -v[92:93]
	v_fma_f64 v[28:29], v[28:29], -0.5, v[16:17]
	v_add_f64 v[48:49], v[48:49], v[54:55]
	v_fma_f64 v[159:160], v[182:183], s[12:13], v[174:175]
	v_fma_f64 v[176:177], v[157:158], -0.5, v[18:19]
	v_fma_f64 v[26:27], v[26:27], -0.5, v[18:19]
	v_add_f64 v[24:25], v[46:47], v[24:25]
	v_fma_f64 v[18:19], v[184:185], s[14:15], v[28:29]
	v_fma_f64 v[28:29], v[184:185], s[12:13], v[28:29]
	;; [unrolled: 1-line block ×17, first 2 shown]
	s_delay_alu instid0(VALU_DEP_4) | instskip(NEXT) | instid1(VALU_DEP_4)
	v_mul_f64 v[26:27], v[28:29], s[22:23]
	v_mul_f64 v[161:162], v[157:158], s[2:3]
	s_delay_alu instid0(VALU_DEP_4) | instskip(NEXT) | instid1(VALU_DEP_2)
	v_mul_f64 v[20:21], v[16:17], s[12:13]
	v_fma_f64 v[161:162], v[159:160], s[18:19], v[161:162]
	v_mul_f64 v[159:160], v[159:160], s[8:9]
	s_delay_alu instid0(VALU_DEP_3) | instskip(SKIP_1) | instid1(VALU_DEP_3)
	v_fma_f64 v[20:21], v[18:19], s[16:17], v[20:21]
	v_mul_f64 v[18:19], v[18:19], s[14:15]
	v_fma_f64 v[163:164], v[157:158], s[18:19], v[159:160]
	v_fma_f64 v[159:160], v[190:191], s[14:15], v[126:127]
	s_delay_alu instid0(VALU_DEP_3) | instskip(SKIP_4) | instid1(VALU_DEP_4)
	v_fma_f64 v[22:23], v[16:17], s[16:17], v[18:19]
	v_fma_f64 v[16:17], v[188:189], s[14:15], v[128:129]
	;; [unrolled: 1-line block ×6, first 2 shown]
	s_delay_alu instid0(VALU_DEP_4) | instskip(NEXT) | instid1(VALU_DEP_4)
	v_fma_f64 v[18:19], v[190:191], s[8:9], v[18:19]
	v_fma_f64 v[157:158], v[188:189], s[2:3], v[157:158]
	s_delay_alu instid0(VALU_DEP_4) | instskip(NEXT) | instid1(VALU_DEP_4)
	v_fma_f64 v[197:198], v[168:169], s[16:17], v[159:160]
	v_fma_f64 v[46:47], v[30:31], s[16:17], v[16:17]
	;; [unrolled: 3-line block ×3, first 2 shown]
	s_delay_alu instid0(VALU_DEP_4)
	v_add_f64 v[159:160], v[197:198], v[163:164]
	v_add_f64 v[163:164], v[197:198], -v[163:164]
	v_add_f64 v[16:17], v[46:47], v[20:21]
	v_add_f64 v[20:21], v[46:47], -v[20:21]
	v_fma_f64 v[46:47], v[188:189], s[12:13], v[128:129]
	v_add_f64 v[18:19], v[54:55], v[22:23]
	v_add_f64 v[22:23], v[54:55], -v[22:23]
	v_fma_f64 v[54:55], v[178:179], s[12:13], v[176:177]
	v_add_f64 v[176:177], v[80:81], -v[88:89]
	v_add_f64 v[178:179], v[40:41], -v[98:99]
	v_add_f64 v[157:158], v[195:196], v[161:162]
	v_add_f64 v[161:162], v[195:196], -v[161:162]
	v_fma_f64 v[46:47], v[186:187], s[8:9], v[46:47]
	v_fma_f64 v[54:55], v[180:181], s[2:3], v[54:55]
	v_add_f64 v[180:181], v[62:63], -v[86:87]
	s_delay_alu instid0(VALU_DEP_3) | instskip(SKIP_1) | instid1(VALU_DEP_1)
	v_fma_f64 v[30:31], v[30:31], s[16:17], v[46:47]
	v_fma_f64 v[46:47], v[192:193], s[14:15], v[150:151]
	v_fma_f64 v[46:47], v[190:191], s[2:3], v[46:47]
	s_delay_alu instid0(VALU_DEP_1) | instskip(SKIP_2) | instid1(VALU_DEP_1)
	v_fma_f64 v[32:33], v[32:33], s[16:17], v[46:47]
	v_fma_f64 v[46:47], v[24:25], s[12:13], v[26:27]
	v_mul_f64 v[24:25], v[24:25], s[22:23]
	v_fma_f64 v[48:49], v[28:29], s[14:15], v[24:25]
	s_delay_alu instid0(VALU_DEP_3)
	v_add_f64 v[24:25], v[30:31], v[46:47]
	v_add_f64 v[28:29], v[30:31], -v[46:47]
	v_fma_f64 v[46:47], v[186:187], s[14:15], v[148:149]
	v_mov_b32_e32 v187, v166
	v_add_f64 v[26:27], v[32:33], v[48:49]
	v_add_f64 v[30:31], v[32:33], -v[48:49]
	v_fma_f64 v[32:33], v[182:183], s[14:15], v[174:175]
	v_fma_f64 v[48:49], v[190:191], s[12:13], v[126:127]
	;; [unrolled: 1-line block ×3, first 2 shown]
	v_add_f64 v[174:175], v[42:43], -v[104:105]
	v_add_f64 v[182:183], v[38:39], -v[96:97]
	v_fma_f64 v[32:33], v[184:185], s[8:9], v[32:33]
	v_fma_f64 v[48:49], v[192:193], s[2:3], v[48:49]
	;; [unrolled: 1-line block ×4, first 2 shown]
	v_add_f64 v[172:173], v[82:83], -v[90:91]
	v_add_f64 v[184:185], v[60:61], -v[84:85]
	v_fma_f64 v[32:33], v[170:171], s[16:17], v[32:33]
	v_fma_f64 v[58:59], v[168:169], s[16:17], v[48:49]
	v_add_f64 v[170:171], v[44:45], -v[106:107]
	s_delay_alu instid0(VALU_DEP_3) | instskip(NEXT) | instid1(VALU_DEP_1)
	v_mul_f64 v[48:49], v[32:33], s[20:21]
	v_fma_f64 v[54:55], v[46:47], s[2:3], v[48:49]
	v_mul_f64 v[46:47], v[46:47], s[20:21]
	s_delay_alu instid0(VALU_DEP_1) | instskip(NEXT) | instid1(VALU_DEP_3)
	v_fma_f64 v[32:33], v[32:33], s[8:9], v[46:47]
	v_add_f64 v[46:47], v[56:57], v[54:55]
	v_add_f64 v[54:55], v[56:57], -v[54:55]
	s_delay_alu instid0(VALU_DEP_3)
	v_add_f64 v[48:49], v[58:59], v[32:33]
	v_add_f64 v[56:57], v[58:59], -v[32:33]
	v_add_f64 v[32:33], v[38:39], -v[60:61]
	;; [unrolled: 1-line block ×3, first 2 shown]
	ds_store_b128 v204, v[157:160] offset:480
	ds_store_b128 v204, v[16:19] offset:960
	ds_store_b128 v204, v[24:27] offset:1440
	ds_store_b128 v204, v[46:49] offset:1920
	ds_store_b128 v204, v[161:164] offset:2880
	ds_store_b128 v204, v[20:23] offset:3360
	ds_store_b128 v204, v[28:31] offset:3840
	ds_store_b128 v204, v[54:57] offset:4320
	v_and_b32_e32 v16, 0xffff, v131
	v_add_f64 v[126:127], v[32:33], v[58:59]
	v_add_f64 v[32:33], v[40:41], -v[62:63]
	v_add_f64 v[58:59], v[98:99], -v[86:87]
	;; [unrolled: 1-line block ×4, first 2 shown]
	v_mul_u32_u24_e32 v16, 0x12c, v16
	s_delay_alu instid0(VALU_DEP_1) | instskip(SKIP_3) | instid1(VALU_DEP_1)
	v_add_lshl_u32 v199, v16, v152, 4
	v_add_f64 v[128:129], v[32:33], v[58:59]
	v_add_f64 v[32:33], v[44:45], -v[82:83]
	v_add_f64 v[58:59], v[106:107], -v[90:91]
	v_add_f64 v[148:149], v[32:33], v[58:59]
	v_add_f64 v[32:33], v[42:43], -v[80:81]
	v_add_f64 v[58:59], v[104:105], -v[88:89]
	s_delay_alu instid0(VALU_DEP_1) | instskip(SKIP_1) | instid1(VALU_DEP_1)
	v_add_f64 v[150:151], v[32:33], v[58:59]
	v_add_f64 v[32:33], v[82:83], v[90:91]
	v_fma_f64 v[155:156], v[32:33], -0.5, v[34:35]
	v_add_f64 v[32:33], v[80:81], v[88:89]
	v_add_f64 v[80:81], v[80:81], -v[42:43]
	v_add_f64 v[42:43], v[42:43], v[104:105]
	s_delay_alu instid0(VALU_DEP_4) | instskip(NEXT) | instid1(VALU_DEP_4)
	v_fma_f64 v[58:59], v[174:175], s[12:13], v[155:156]
	v_fma_f64 v[168:169], v[32:33], -0.5, v[36:37]
	s_delay_alu instid0(VALU_DEP_3) | instskip(NEXT) | instid1(VALU_DEP_3)
	v_fma_f64 v[42:43], v[42:43], -0.5, v[36:37]
	v_fma_f64 v[58:59], v[176:177], s[2:3], v[58:59]
	s_delay_alu instid0(VALU_DEP_3) | instskip(NEXT) | instid1(VALU_DEP_2)
	v_fma_f64 v[32:33], v[170:171], s[14:15], v[168:169]
	v_fma_f64 v[58:59], v[148:149], s[16:17], v[58:59]
	s_delay_alu instid0(VALU_DEP_2) | instskip(NEXT) | instid1(VALU_DEP_1)
	v_fma_f64 v[32:33], v[172:173], s[8:9], v[32:33]
	v_fma_f64 v[32:33], v[150:151], s[16:17], v[32:33]
	s_delay_alu instid0(VALU_DEP_1) | instskip(NEXT) | instid1(VALU_DEP_1)
	v_mul_f64 v[72:73], v[32:33], s[2:3]
	v_fma_f64 v[92:93], v[58:59], s[18:19], v[72:73]
	v_mul_f64 v[58:59], v[58:59], s[8:9]
	v_fma_f64 v[72:73], v[182:183], s[14:15], v[134:135]
	s_delay_alu instid0(VALU_DEP_2) | instskip(SKIP_1) | instid1(VALU_DEP_3)
	v_fma_f64 v[32:33], v[32:33], s[18:19], v[58:59]
	v_fma_f64 v[58:59], v[178:179], s[12:13], v[132:133]
	;; [unrolled: 1-line block ×3, first 2 shown]
	s_delay_alu instid0(VALU_DEP_2) | instskip(NEXT) | instid1(VALU_DEP_2)
	v_fma_f64 v[58:59], v[180:181], s[2:3], v[58:59]
	v_fma_f64 v[94:95], v[128:129], s[16:17], v[72:73]
	s_delay_alu instid0(VALU_DEP_2) | instskip(NEXT) | instid1(VALU_DEP_2)
	v_fma_f64 v[58:59], v[126:127], s[16:17], v[58:59]
	v_add_f64 v[74:75], v[94:95], v[32:33]
	v_add_f64 v[94:95], v[94:95], -v[32:33]
	v_add_f64 v[32:33], v[60:61], -v[38:39]
	;; [unrolled: 1-line block ×4, first 2 shown]
	v_add_f64 v[44:45], v[44:45], v[106:107]
	v_add_f64 v[82:83], v[88:89], -v[104:105]
	v_add_f64 v[88:89], v[118:119], -v[110:111]
	v_add_f64 v[72:73], v[58:59], v[92:93]
	v_add_f64 v[92:93], v[58:59], -v[92:93]
	v_add_f64 v[58:59], v[86:87], -v[98:99]
	v_add_f64 v[84:85], v[32:33], v[38:39]
	v_fma_f64 v[32:33], v[172:173], s[12:13], v[42:43]
	v_fma_f64 v[44:45], v[44:45], -0.5, v[34:35]
	v_fma_f64 v[42:43], v[172:173], s[14:15], v[42:43]
	v_add_f64 v[40:41], v[40:41], v[58:59]
	v_add_f64 v[58:59], v[60:61], v[62:63]
	;; [unrolled: 1-line block ×3, first 2 shown]
	v_fma_f64 v[32:33], v[170:171], s[8:9], v[32:33]
	v_fma_f64 v[34:35], v[176:177], s[14:15], v[44:45]
	;; [unrolled: 1-line block ×4, first 2 shown]
	v_add_f64 v[168:169], v[64:65], -v[116:117]
	v_add_f64 v[170:171], v[76:77], -v[108:109]
	v_fma_f64 v[32:33], v[60:61], s[16:17], v[32:33]
	v_fma_f64 v[34:35], v[174:175], s[2:3], v[34:35]
	;; [unrolled: 1-line block ×4, first 2 shown]
	s_delay_alu instid0(VALU_DEP_4) | instskip(NEXT) | instid1(VALU_DEP_4)
	v_mul_f64 v[36:37], v[32:33], s[12:13]
	v_fma_f64 v[34:35], v[58:59], s[16:17], v[34:35]
	s_delay_alu instid0(VALU_DEP_1) | instskip(SKIP_1) | instid1(VALU_DEP_1)
	v_fma_f64 v[36:37], v[34:35], s[16:17], v[36:37]
	v_mul_f64 v[34:35], v[34:35], s[14:15]
	v_fma_f64 v[38:39], v[32:33], s[16:17], v[34:35]
	v_fma_f64 v[34:35], v[184:185], s[12:13], v[138:139]
	;; [unrolled: 1-line block ×3, first 2 shown]
	s_delay_alu instid0(VALU_DEP_2) | instskip(NEXT) | instid1(VALU_DEP_2)
	v_fma_f64 v[34:35], v[182:183], s[8:9], v[34:35]
	v_fma_f64 v[32:33], v[178:179], s[2:3], v[32:33]
	s_delay_alu instid0(VALU_DEP_2) | instskip(NEXT) | instid1(VALU_DEP_2)
	v_fma_f64 v[80:81], v[40:41], s[16:17], v[34:35]
	v_fma_f64 v[62:63], v[84:85], s[16:17], v[32:33]
	s_delay_alu instid0(VALU_DEP_2) | instskip(SKIP_2) | instid1(VALU_DEP_4)
	v_add_f64 v[34:35], v[80:81], v[38:39]
	v_add_f64 v[38:39], v[80:81], -v[38:39]
	v_fma_f64 v[80:81], v[184:185], s[14:15], v[138:139]
	v_add_f64 v[32:33], v[62:63], v[36:37]
	v_add_f64 v[36:37], v[62:63], -v[36:37]
	v_fma_f64 v[62:63], v[180:181], s[12:13], v[136:137]
	v_add_f64 v[136:137], v[102:103], -v[114:115]
	v_add_f64 v[138:139], v[68:69], -v[120:121]
	v_fma_f64 v[80:81], v[182:183], s[2:3], v[80:81]
	s_delay_alu instid0(VALU_DEP_4) | instskip(NEXT) | instid1(VALU_DEP_2)
	v_fma_f64 v[62:63], v[178:179], s[8:9], v[62:63]
	v_fma_f64 v[80:81], v[40:41], s[16:17], v[80:81]
	;; [unrolled: 1-line block ×3, first 2 shown]
	s_delay_alu instid0(VALU_DEP_3) | instskip(NEXT) | instid1(VALU_DEP_2)
	v_fma_f64 v[62:63], v[84:85], s[16:17], v[62:63]
	v_fma_f64 v[40:41], v[174:175], s[8:9], v[40:41]
	s_delay_alu instid0(VALU_DEP_1) | instskip(NEXT) | instid1(VALU_DEP_1)
	v_fma_f64 v[40:41], v[58:59], s[16:17], v[40:41]
	v_mul_f64 v[44:45], v[40:41], s[22:23]
	s_delay_alu instid0(VALU_DEP_1) | instskip(SKIP_1) | instid1(VALU_DEP_2)
	v_fma_f64 v[44:45], v[42:43], s[12:13], v[44:45]
	v_mul_f64 v[42:43], v[42:43], s[22:23]
	v_add_f64 v[58:59], v[62:63], -v[44:45]
	s_delay_alu instid0(VALU_DEP_2)
	v_fma_f64 v[60:61], v[40:41], s[14:15], v[42:43]
	v_add_f64 v[40:41], v[62:63], v[44:45]
	v_fma_f64 v[44:45], v[174:175], s[14:15], v[155:156]
	v_fma_f64 v[62:63], v[178:179], s[14:15], v[132:133]
	v_add_f64 v[155:156], v[78:79], -v[110:111]
	v_add_f64 v[42:43], v[80:81], v[60:61]
	v_add_f64 v[60:61], v[80:81], -v[60:61]
	v_fma_f64 v[80:81], v[182:183], s[12:13], v[134:135]
	v_fma_f64 v[44:45], v[176:177], s[8:9], v[44:45]
	;; [unrolled: 1-line block ×3, first 2 shown]
	v_add_f64 v[134:135], v[70:71], -v[122:123]
	s_delay_alu instid0(VALU_DEP_4) | instskip(NEXT) | instid1(VALU_DEP_4)
	v_fma_f64 v[80:81], v[184:185], s[2:3], v[80:81]
	v_fma_f64 v[44:45], v[148:149], s[16:17], v[44:45]
	s_delay_alu instid0(VALU_DEP_4) | instskip(SKIP_1) | instid1(VALU_DEP_4)
	v_fma_f64 v[62:63], v[126:127], s[16:17], v[62:63]
	v_add_f64 v[148:149], v[100:101], -v[112:113]
	v_fma_f64 v[86:87], v[128:129], s[16:17], v[80:81]
	v_fma_f64 v[80:81], v[150:151], s[16:17], v[82:83]
	v_mul_f64 v[82:83], v[44:45], s[20:21]
	v_add_f64 v[150:151], v[66:67], -v[118:119]
	s_delay_alu instid0(VALU_DEP_2) | instskip(SKIP_1) | instid1(VALU_DEP_1)
	v_fma_f64 v[84:85], v[80:81], s[2:3], v[82:83]
	v_mul_f64 v[80:81], v[80:81], s[20:21]
	v_fma_f64 v[44:45], v[44:45], s[8:9], v[80:81]
	s_delay_alu instid0(VALU_DEP_3) | instskip(SKIP_2) | instid1(VALU_DEP_4)
	v_add_f64 v[80:81], v[62:63], v[84:85]
	v_add_f64 v[84:85], v[62:63], -v[84:85]
	v_add_f64 v[62:63], v[116:117], -v[108:109]
	v_add_f64 v[82:83], v[86:87], v[44:45]
	v_add_f64 v[86:87], v[86:87], -v[44:45]
	v_add_f64 v[44:45], v[64:65], -v[76:77]
	ds_store_b128 v199, v[0:3]
	ds_store_b128 v199, v[72:75] offset:480
	ds_store_b128 v199, v[32:35] offset:960
	;; [unrolled: 1-line block ×9, first 2 shown]
	v_mad_u16 v0, 0x12c, v153, v154
	v_mad_u64_u32 v[4:5], null, 0x90, v166, s[10:11]
	v_add_f64 v[44:45], v[44:45], v[62:63]
	v_add_f64 v[62:63], v[66:67], -v[78:79]
	v_add_f64 v[66:67], v[78:79], -v[66:67]
	;; [unrolled: 1-line block ×3, first 2 shown]
	v_and_b32_e32 v0, 0xffff, v0
	v_add_co_u32 v6, vcc_lo, 0x1000, v4
	v_add_co_ci_u32_e32 v7, vcc_lo, 0, v5, vcc_lo
	s_delay_alu instid0(VALU_DEP_3) | instskip(SKIP_4) | instid1(VALU_DEP_2)
	v_lshlrev_b32_e32 v182, 4, v0
	v_add_f64 v[104:105], v[62:63], v[88:89]
	v_add_f64 v[62:63], v[70:71], -v[102:103]
	v_add_f64 v[88:89], v[122:123], -v[114:115]
	v_add_f64 v[70:71], v[70:71], v[122:123]
	v_add_f64 v[106:107], v[62:63], v[88:89]
	v_add_f64 v[62:63], v[68:69], -v[100:101]
	v_add_f64 v[88:89], v[120:121], -v[112:113]
	s_delay_alu instid0(VALU_DEP_4) | instskip(NEXT) | instid1(VALU_DEP_2)
	v_fma_f64 v[70:71], v[70:71], -0.5, v[50:51]
	v_add_f64 v[126:127], v[62:63], v[88:89]
	v_add_f64 v[62:63], v[102:103], v[114:115]
	v_add_f64 v[102:103], v[114:115], -v[122:123]
	s_delay_alu instid0(VALU_DEP_2) | instskip(SKIP_3) | instid1(VALU_DEP_4)
	v_fma_f64 v[128:129], v[62:63], -0.5, v[50:51]
	v_add_f64 v[62:63], v[100:101], v[112:113]
	v_add_f64 v[100:101], v[100:101], -v[68:69]
	v_add_f64 v[68:69], v[68:69], v[120:121]
	v_fma_f64 v[88:89], v[138:139], s[12:13], v[128:129]
	s_delay_alu instid0(VALU_DEP_4) | instskip(NEXT) | instid1(VALU_DEP_3)
	v_fma_f64 v[132:133], v[62:63], -0.5, v[52:53]
	v_fma_f64 v[68:69], v[68:69], -0.5, v[52:53]
	v_fma_f64 v[52:53], v[148:149], s[14:15], v[70:71]
	s_delay_alu instid0(VALU_DEP_4) | instskip(NEXT) | instid1(VALU_DEP_4)
	v_fma_f64 v[88:89], v[148:149], s[2:3], v[88:89]
	v_fma_f64 v[62:63], v[134:135], s[14:15], v[132:133]
	s_delay_alu instid0(VALU_DEP_4) | instskip(NEXT) | instid1(VALU_DEP_4)
	v_fma_f64 v[50:51], v[136:137], s[12:13], v[68:69]
	v_fma_f64 v[52:53], v[138:139], s[2:3], v[52:53]
	;; [unrolled: 1-line block ×6, first 2 shown]
	s_delay_alu instid0(VALU_DEP_4) | instskip(NEXT) | instid1(VALU_DEP_3)
	v_fma_f64 v[68:69], v[134:135], s[2:3], v[68:69]
	v_fma_f64 v[62:63], v[126:127], s[16:17], v[62:63]
	s_delay_alu instid0(VALU_DEP_1) | instskip(NEXT) | instid1(VALU_DEP_1)
	v_mul_f64 v[90:91], v[62:63], s[2:3]
	v_fma_f64 v[96:97], v[88:89], s[18:19], v[90:91]
	v_mul_f64 v[88:89], v[88:89], s[8:9]
	v_fma_f64 v[90:91], v[168:169], s[14:15], v[142:143]
	s_delay_alu instid0(VALU_DEP_2) | instskip(SKIP_1) | instid1(VALU_DEP_3)
	v_fma_f64 v[62:63], v[62:63], s[18:19], v[88:89]
	v_fma_f64 v[88:89], v[150:151], s[12:13], v[140:141]
	;; [unrolled: 1-line block ×3, first 2 shown]
	s_delay_alu instid0(VALU_DEP_2) | instskip(NEXT) | instid1(VALU_DEP_2)
	v_fma_f64 v[88:89], v[155:156], s[2:3], v[88:89]
	v_fma_f64 v[172:173], v[104:105], s[16:17], v[90:91]
	s_delay_alu instid0(VALU_DEP_2) | instskip(NEXT) | instid1(VALU_DEP_2)
	v_fma_f64 v[98:99], v[44:45], s[16:17], v[88:89]
	v_add_f64 v[90:91], v[172:173], v[62:63]
	s_delay_alu instid0(VALU_DEP_2)
	v_add_f64 v[88:89], v[98:99], v[96:97]
	v_add_f64 v[96:97], v[98:99], -v[96:97]
	v_add_f64 v[98:99], v[172:173], -v[62:63]
	;; [unrolled: 1-line block ×6, first 2 shown]
	s_delay_alu instid0(VALU_DEP_3) | instskip(NEXT) | instid1(VALU_DEP_3)
	v_add_f64 v[110:111], v[62:63], v[64:65]
	v_add_f64 v[66:67], v[66:67], v[76:77]
	;; [unrolled: 1-line block ×3, first 2 shown]
	s_delay_alu instid0(VALU_DEP_4) | instskip(SKIP_1) | instid1(VALU_DEP_3)
	v_add_f64 v[78:79], v[100:101], v[108:109]
	v_fma_f64 v[108:109], v[134:135], s[12:13], v[132:133]
	v_fma_f64 v[52:53], v[76:77], s[16:17], v[52:53]
	s_delay_alu instid0(VALU_DEP_3) | instskip(SKIP_1) | instid1(VALU_DEP_4)
	v_fma_f64 v[50:51], v[78:79], s[16:17], v[50:51]
	v_fma_f64 v[68:69], v[78:79], s[16:17], v[68:69]
	;; [unrolled: 1-line block ×3, first 2 shown]
	s_delay_alu instid0(VALU_DEP_3) | instskip(NEXT) | instid1(VALU_DEP_1)
	v_mul_f64 v[62:63], v[50:51], s[12:13]
	v_fma_f64 v[62:63], v[52:53], s[16:17], v[62:63]
	v_mul_f64 v[52:53], v[52:53], s[14:15]
	s_delay_alu instid0(VALU_DEP_1) | instskip(SKIP_2) | instid1(VALU_DEP_2)
	v_fma_f64 v[64:65], v[50:51], s[16:17], v[52:53]
	v_fma_f64 v[52:53], v[170:171], s[12:13], v[146:147]
	;; [unrolled: 1-line block ×4, first 2 shown]
	s_delay_alu instid0(VALU_DEP_2) | instskip(NEXT) | instid1(VALU_DEP_2)
	v_fma_f64 v[50:51], v[150:151], s[2:3], v[50:51]
	v_fma_f64 v[102:103], v[66:67], s[16:17], v[52:53]
	s_delay_alu instid0(VALU_DEP_2) | instskip(NEXT) | instid1(VALU_DEP_2)
	v_fma_f64 v[100:101], v[110:111], s[16:17], v[50:51]
	v_add_f64 v[52:53], v[102:103], v[64:65]
	v_add_f64 v[64:65], v[102:103], -v[64:65]
	v_fma_f64 v[102:103], v[170:171], s[14:15], v[146:147]
	s_delay_alu instid0(VALU_DEP_4) | instskip(SKIP_2) | instid1(VALU_DEP_4)
	v_add_f64 v[50:51], v[100:101], v[62:63]
	v_add_f64 v[62:63], v[100:101], -v[62:63]
	v_fma_f64 v[100:101], v[155:156], s[12:13], v[144:145]
	v_fma_f64 v[102:103], v[168:169], s[2:3], v[102:103]
	s_delay_alu instid0(VALU_DEP_2) | instskip(NEXT) | instid1(VALU_DEP_2)
	v_fma_f64 v[100:101], v[150:151], s[8:9], v[100:101]
	v_fma_f64 v[102:103], v[66:67], s[16:17], v[102:103]
	;; [unrolled: 1-line block ×3, first 2 shown]
	s_delay_alu instid0(VALU_DEP_3) | instskip(NEXT) | instid1(VALU_DEP_2)
	v_fma_f64 v[100:101], v[110:111], s[16:17], v[100:101]
	v_fma_f64 v[66:67], v[138:139], s[8:9], v[66:67]
	s_delay_alu instid0(VALU_DEP_1) | instskip(NEXT) | instid1(VALU_DEP_1)
	v_fma_f64 v[66:67], v[76:77], s[16:17], v[66:67]
	v_mul_f64 v[70:71], v[66:67], s[22:23]
	s_delay_alu instid0(VALU_DEP_1) | instskip(SKIP_1) | instid1(VALU_DEP_2)
	v_fma_f64 v[70:71], v[68:69], s[12:13], v[70:71]
	v_mul_f64 v[68:69], v[68:69], s[22:23]
	v_add_f64 v[76:77], v[100:101], -v[70:71]
	s_delay_alu instid0(VALU_DEP_2) | instskip(SKIP_3) | instid1(VALU_DEP_4)
	v_fma_f64 v[78:79], v[66:67], s[14:15], v[68:69]
	v_add_f64 v[66:67], v[100:101], v[70:71]
	v_fma_f64 v[70:71], v[138:139], s[14:15], v[128:129]
	v_fma_f64 v[100:101], v[150:151], s[14:15], v[140:141]
	v_add_f64 v[68:69], v[102:103], v[78:79]
	v_add_f64 v[78:79], v[102:103], -v[78:79]
	v_fma_f64 v[102:103], v[168:169], s[12:13], v[142:143]
	v_fma_f64 v[70:71], v[148:149], s[8:9], v[70:71]
	;; [unrolled: 1-line block ×3, first 2 shown]
	s_delay_alu instid0(VALU_DEP_3) | instskip(NEXT) | instid1(VALU_DEP_3)
	v_fma_f64 v[102:103], v[170:171], s[2:3], v[102:103]
	v_fma_f64 v[70:71], v[106:107], s[16:17], v[70:71]
	s_delay_alu instid0(VALU_DEP_3) | instskip(SKIP_1) | instid1(VALU_DEP_4)
	v_fma_f64 v[44:45], v[44:45], s[16:17], v[100:101]
	v_fma_f64 v[100:101], v[126:127], s[16:17], v[108:109]
	v_fma_f64 v[106:107], v[104:105], s[16:17], v[102:103]
	s_delay_alu instid0(VALU_DEP_4) | instskip(NEXT) | instid1(VALU_DEP_1)
	v_mul_f64 v[102:103], v[70:71], s[20:21]
	v_fma_f64 v[104:105], v[100:101], s[2:3], v[102:103]
	v_mul_f64 v[100:101], v[100:101], s[20:21]
	s_delay_alu instid0(VALU_DEP_1) | instskip(NEXT) | instid1(VALU_DEP_3)
	v_fma_f64 v[70:71], v[70:71], s[8:9], v[100:101]
	v_add_f64 v[100:101], v[44:45], v[104:105]
	v_add_f64 v[104:105], v[44:45], -v[104:105]
	s_delay_alu instid0(VALU_DEP_3)
	v_add_f64 v[102:103], v[106:107], v[70:71]
	v_add_f64 v[106:107], v[106:107], -v[70:71]
	ds_store_b128 v182, v[8:11]
	ds_store_b128 v182, v[88:91] offset:480
	ds_store_b128 v182, v[50:53] offset:960
	;; [unrolled: 1-line block ×9, first 2 shown]
	s_waitcnt lgkmcnt(0)
	s_barrier
	buffer_gl0_inv
	global_load_b128 v[10:13], v[6:7], off offset:544
	ds_load_b128 v[0:3], v124 offset:4800
	ds_load_b128 v[16:19], v124 offset:41600
	s_waitcnt vmcnt(0) lgkmcnt(1)
	v_mul_f64 v[8:9], v[2:3], v[12:13]
	scratch_store_b128 off, v[10:13], off offset:1308 ; 16-byte Folded Spill
	v_fma_f64 v[174:175], v[0:1], v[10:11], -v[8:9]
	v_add_co_u32 v8, vcc_lo, 0x1220, v4
	v_add_co_ci_u32_e32 v9, vcc_lo, 0, v5, vcc_lo
	v_mul_f64 v[0:1], v[0:1], v[12:13]
	global_load_b128 v[12:15], v[8:9], off offset:16
	v_fma_f64 v[156:157], v[2:3], v[10:11], v[0:1]
	ds_load_b128 v[0:3], v124 offset:9600
	s_waitcnt vmcnt(0) lgkmcnt(0)
	v_mul_f64 v[10:11], v[2:3], v[14:15]
	scratch_store_b128 off, v[12:15], off offset:1324 ; 16-byte Folded Spill
	v_fma_f64 v[131:132], v[0:1], v[12:13], -v[10:11]
	v_mul_f64 v[0:1], v[0:1], v[14:15]
	s_delay_alu instid0(VALU_DEP_1)
	v_fma_f64 v[120:121], v[2:3], v[12:13], v[0:1]
	global_load_b128 v[12:15], v[8:9], off offset:32
	ds_load_b128 v[0:3], v124 offset:14400
	s_waitcnt vmcnt(0) lgkmcnt(0)
	v_mul_f64 v[10:11], v[2:3], v[14:15]
	scratch_store_b128 off, v[12:15], off offset:1292 ; 16-byte Folded Spill
	v_fma_f64 v[104:105], v[0:1], v[12:13], -v[10:11]
	v_mul_f64 v[0:1], v[0:1], v[14:15]
	s_delay_alu instid0(VALU_DEP_1)
	v_fma_f64 v[116:117], v[2:3], v[12:13], v[0:1]
	global_load_b128 v[10:13], v[8:9], off offset:48
	;; [unrolled: 9-line block ×3, first 2 shown]
	ds_load_b128 v[0:3], v124 offset:24000
	s_waitcnt vmcnt(0) lgkmcnt(0)
	v_mul_f64 v[8:9], v[2:3], v[12:13]
	scratch_store_b128 off, v[10:13], off offset:1340 ; 16-byte Folded Spill
	v_fma_f64 v[48:49], v[0:1], v[10:11], -v[8:9]
	v_add_co_u32 v8, vcc_lo, 0x1260, v4
	v_add_co_ci_u32_e32 v9, vcc_lo, 0, v5, vcc_lo
	v_mul_f64 v[0:1], v[0:1], v[12:13]
	global_load_b128 v[12:15], v[8:9], off offset:16
	v_fma_f64 v[72:73], v[2:3], v[10:11], v[0:1]
	ds_load_b128 v[0:3], v124 offset:28800
	s_waitcnt vmcnt(0) lgkmcnt(0)
	v_mul_f64 v[10:11], v[2:3], v[14:15]
	scratch_store_b128 off, v[12:15], off offset:1356 ; 16-byte Folded Spill
	v_fma_f64 v[46:47], v[0:1], v[12:13], -v[10:11]
	v_mul_f64 v[0:1], v[0:1], v[14:15]
	s_delay_alu instid0(VALU_DEP_2) | instskip(NEXT) | instid1(VALU_DEP_2)
	v_add_f64 v[183:184], v[92:93], -v[46:47]
	v_fma_f64 v[90:91], v[2:3], v[12:13], v[0:1]
	global_load_b128 v[12:15], v[8:9], off offset:32
	ds_load_b128 v[0:3], v124 offset:33600
	v_add_f64 v[185:186], v[100:101], -v[90:91]
	s_waitcnt vmcnt(0) lgkmcnt(0)
	v_mul_f64 v[10:11], v[2:3], v[14:15]
	scratch_store_b128 off, v[12:15], off offset:1372 ; 16-byte Folded Spill
	v_fma_f64 v[154:155], v[0:1], v[12:13], -v[10:11]
	v_mul_f64 v[0:1], v[0:1], v[14:15]
	s_delay_alu instid0(VALU_DEP_1)
	v_fma_f64 v[128:129], v[2:3], v[12:13], v[0:1]
	global_load_b128 v[10:13], v[8:9], off offset:48
	ds_load_b128 v[0:3], v124 offset:38400
	s_waitcnt vmcnt(0) lgkmcnt(0)
	v_mul_f64 v[8:9], v[2:3], v[12:13]
	scratch_store_b128 off, v[10:13], off offset:1396 ; 16-byte Folded Spill
	v_fma_f64 v[30:31], v[0:1], v[10:11], -v[8:9]
	v_mul_f64 v[0:1], v[0:1], v[12:13]
	s_delay_alu instid0(VALU_DEP_1)
	v_fma_f64 v[76:77], v[2:3], v[10:11], v[0:1]
	global_load_b128 v[8:11], v[6:7], off offset:672
	ds_load_b128 v[0:3], v124 offset:43200
	v_add_f64 v[188:189], v[120:121], -v[76:77]
	s_waitcnt vmcnt(0) lgkmcnt(0)
	v_mul_f64 v[6:7], v[2:3], v[10:11]
	scratch_store_b128 off, v[8:11], off offset:1412 ; 16-byte Folded Spill
	v_fma_f64 v[74:75], v[0:1], v[8:9], -v[6:7]
	v_add_co_u32 v6, vcc_lo, 0x4000, v4
	v_add_co_ci_u32_e32 v7, vcc_lo, 0, v5, vcc_lo
	v_mul_f64 v[0:1], v[0:1], v[10:11]
	s_clause 0x1
	global_load_b128 v[10:13], v[6:7], off offset:2656
	global_load_b128 v[240:243], v[6:7], off offset:2784
	v_add_f64 v[222:223], v[104:105], -v[74:75]
	v_fma_f64 v[28:29], v[2:3], v[8:9], v[0:1]
	ds_load_b128 v[0:3], v124 offset:6400
	v_add_f64 v[190:191], v[116:117], -v[28:29]
	s_waitcnt vmcnt(1) lgkmcnt(0)
	v_mul_f64 v[8:9], v[2:3], v[12:13]
	scratch_store_b128 off, v[10:13], off offset:1428 ; 16-byte Folded Spill
	v_fma_f64 v[192:193], v[0:1], v[10:11], -v[8:9]
	v_add_co_u32 v8, vcc_lo, 0x4a60, v4
	v_add_co_ci_u32_e32 v9, vcc_lo, 0, v5, vcc_lo
	v_mul_f64 v[0:1], v[0:1], v[12:13]
	global_load_b128 v[12:15], v[8:9], off offset:16
	v_fma_f64 v[254:255], v[2:3], v[10:11], v[0:1]
	ds_load_b128 v[0:3], v124 offset:11200
	s_waitcnt vmcnt(0) lgkmcnt(0)
	v_mul_f64 v[10:11], v[2:3], v[14:15]
	scratch_store_b128 off, v[12:15], off offset:1444 ; 16-byte Folded Spill
	v_fma_f64 v[86:87], v[0:1], v[12:13], -v[10:11]
	v_mul_f64 v[0:1], v[0:1], v[14:15]
	s_delay_alu instid0(VALU_DEP_1)
	v_fma_f64 v[96:97], v[2:3], v[12:13], v[0:1]
	global_load_b128 v[12:15], v[8:9], off offset:32
	ds_load_b128 v[0:3], v124 offset:16000
	s_waitcnt vmcnt(0) lgkmcnt(0)
	v_mul_f64 v[10:11], v[2:3], v[14:15]
	scratch_store_b128 off, v[12:15], off offset:1460 ; 16-byte Folded Spill
	v_fma_f64 v[52:53], v[0:1], v[12:13], -v[10:11]
	v_mul_f64 v[0:1], v[0:1], v[14:15]
	s_delay_alu instid0(VALU_DEP_1)
	v_fma_f64 v[64:65], v[2:3], v[12:13], v[0:1]
	global_load_b128 v[10:13], v[8:9], off offset:48
	;; [unrolled: 9-line block ×3, first 2 shown]
	ds_load_b128 v[0:3], v124 offset:25600
	s_waitcnt vmcnt(0) lgkmcnt(0)
	v_mul_f64 v[8:9], v[2:3], v[12:13]
	scratch_store_b128 off, v[10:13], off offset:1492 ; 16-byte Folded Spill
	v_fma_f64 v[80:81], v[0:1], v[10:11], -v[8:9]
	v_add_co_u32 v8, vcc_lo, 0x4aa0, v4
	v_add_co_ci_u32_e32 v9, vcc_lo, 0, v5, vcc_lo
	v_mul_f64 v[0:1], v[0:1], v[12:13]
	v_add_co_u32 v20, vcc_lo, 0x8000, v4
	s_clause 0x2
	global_load_b128 v[12:15], v[8:9], off offset:16
	global_load_b128 v[250:253], v[8:9], off offset:32
	;; [unrolled: 1-line block ×3, first 2 shown]
	v_add_co_ci_u32_e32 v21, vcc_lo, 0, v5, vcc_lo
	s_clause 0x2
	global_load_b128 v[236:239], v[20:21], off offset:672
	global_load_b128 v[217:220], v[20:21], off offset:736
	;; [unrolled: 1-line block ×3, first 2 shown]
	v_fma_f64 v[42:43], v[2:3], v[10:11], v[0:1]
	ds_load_b128 v[0:3], v124 offset:30400
	s_waitcnt vmcnt(5) lgkmcnt(0)
	v_mul_f64 v[10:11], v[2:3], v[14:15]
	scratch_store_b128 off, v[12:15], off offset:1508 ; 16-byte Folded Spill
	v_fma_f64 v[40:41], v[0:1], v[12:13], -v[10:11]
	v_mul_f64 v[0:1], v[0:1], v[14:15]
	s_delay_alu instid0(VALU_DEP_1) | instskip(SKIP_3) | instid1(VALU_DEP_1)
	v_fma_f64 v[94:95], v[2:3], v[12:13], v[0:1]
	ds_load_b128 v[0:3], v124 offset:35200
	s_waitcnt vmcnt(4) lgkmcnt(0)
	v_mul_f64 v[10:11], v[2:3], v[252:253]
	v_fma_f64 v[98:99], v[0:1], v[250:251], -v[10:11]
	v_mul_f64 v[0:1], v[0:1], v[252:253]
	s_delay_alu instid0(VALU_DEP_1) | instskip(SKIP_3) | instid1(VALU_DEP_1)
	v_fma_f64 v[26:27], v[2:3], v[250:251], v[0:1]
	ds_load_b128 v[0:3], v124 offset:40000
	s_waitcnt vmcnt(3) lgkmcnt(0)
	v_mul_f64 v[8:9], v[2:3], v[246:247]
	v_fma_f64 v[24:25], v[0:1], v[244:245], -v[8:9]
	v_mul_f64 v[0:1], v[0:1], v[246:247]
	s_delay_alu instid0(VALU_DEP_1) | instskip(SKIP_3) | instid1(VALU_DEP_1)
	v_fma_f64 v[102:103], v[2:3], v[244:245], v[0:1]
	ds_load_b128 v[0:3], v124 offset:44800
	s_waitcnt lgkmcnt(0)
	v_mul_f64 v[6:7], v[2:3], v[242:243]
	v_fma_f64 v[106:107], v[0:1], v[240:241], -v[6:7]
	v_mul_f64 v[0:1], v[0:1], v[242:243]
	s_delay_alu instid0(VALU_DEP_1) | instskip(SKIP_3) | instid1(VALU_DEP_1)
	v_fma_f64 v[14:15], v[2:3], v[240:241], v[0:1]
	ds_load_b128 v[0:3], v124 offset:8000
	s_waitcnt vmcnt(2) lgkmcnt(0)
	v_mul_f64 v[6:7], v[2:3], v[238:239]
	v_fma_f64 v[172:173], v[0:1], v[236:237], -v[6:7]
	v_add_co_u32 v6, vcc_lo, 0x82a0, v4
	v_add_co_ci_u32_e32 v7, vcc_lo, 0, v5, vcc_lo
	v_mul_f64 v[0:1], v[0:1], v[238:239]
	v_add_co_u32 v4, vcc_lo, 0x82e0, v4
	s_clause 0x2
	global_load_b128 v[232:235], v[6:7], off offset:16
	global_load_b128 v[228:231], v[6:7], off offset:32
	global_load_b128 v[224:227], v[6:7], off offset:48
	v_add_co_ci_u32_e32 v5, vcc_lo, 0, v5, vcc_lo
	s_clause 0x2
	global_load_b128 v[209:212], v[4:5], off offset:48
	global_load_b128 v[176:179], v[4:5], off offset:16
	;; [unrolled: 1-line block ×3, first 2 shown]
	v_add_f64 v[4:5], v[72:73], -v[128:129]
	v_fma_f64 v[166:167], v[2:3], v[236:237], v[0:1]
	ds_load_b128 v[0:3], v124 offset:12800
	s_waitcnt vmcnt(5) lgkmcnt(0)
	v_mul_f64 v[8:9], v[2:3], v[234:235]
	s_delay_alu instid0(VALU_DEP_1) | instskip(SKIP_1) | instid1(VALU_DEP_1)
	v_fma_f64 v[56:57], v[0:1], v[232:233], -v[8:9]
	v_mul_f64 v[0:1], v[0:1], v[234:235]
	v_fma_f64 v[84:85], v[2:3], v[232:233], v[0:1]
	ds_load_b128 v[0:3], v124 offset:17600
	s_waitcnt vmcnt(4) lgkmcnt(0)
	v_mul_f64 v[8:9], v[2:3], v[230:231]
	s_delay_alu instid0(VALU_DEP_1) | instskip(SKIP_1) | instid1(VALU_DEP_1)
	v_fma_f64 v[82:83], v[0:1], v[228:229], -v[8:9]
	v_mul_f64 v[0:1], v[0:1], v[230:231]
	;; [unrolled: 7-line block ×3, first 2 shown]
	v_fma_f64 v[78:79], v[2:3], v[224:225], v[0:1]
	ds_load_b128 v[0:3], v124 offset:27200
	s_waitcnt lgkmcnt(0)
	v_mul_f64 v[6:7], v[2:3], v[219:220]
	s_delay_alu instid0(VALU_DEP_1) | instskip(SKIP_1) | instid1(VALU_DEP_1)
	v_fma_f64 v[62:63], v[0:1], v[217:218], -v[6:7]
	v_mul_f64 v[0:1], v[0:1], v[219:220]
	v_fma_f64 v[38:39], v[2:3], v[217:218], v[0:1]
	ds_load_b128 v[0:3], v124 offset:32000
	s_waitcnt vmcnt(1) lgkmcnt(0)
	v_mul_f64 v[6:7], v[2:3], v[178:179]
	s_delay_alu instid0(VALU_DEP_1) | instskip(SKIP_1) | instid1(VALU_DEP_1)
	v_fma_f64 v[36:37], v[0:1], v[176:177], -v[6:7]
	v_mul_f64 v[0:1], v[0:1], v[178:179]
	v_fma_f64 v[66:67], v[2:3], v[176:177], v[0:1]
	ds_load_b128 v[0:3], v124 offset:36800
	s_waitcnt vmcnt(0) lgkmcnt(0)
	v_mul_f64 v[6:7], v[2:3], v[207:208]
	s_delay_alu instid0(VALU_DEP_1) | instskip(SKIP_2) | instid1(VALU_DEP_2)
	v_fma_f64 v[118:119], v[0:1], v[205:206], -v[6:7]
	v_mul_f64 v[0:1], v[0:1], v[207:208]
	v_add_f64 v[6:7], v[48:49], -v[154:155]
	v_fma_f64 v[34:35], v[2:3], v[205:206], v[0:1]
	v_mul_f64 v[0:1], v[18:19], v[211:212]
	s_delay_alu instid0(VALU_DEP_1) | instskip(SKIP_1) | instid1(VALU_DEP_1)
	v_fma_f64 v[141:142], v[16:17], v[209:210], -v[0:1]
	v_mul_f64 v[0:1], v[16:17], v[211:212]
	v_fma_f64 v[122:123], v[18:19], v[209:210], v[0:1]
	ds_load_b128 v[16:19], v124 offset:46400
	s_waitcnt lgkmcnt(0)
	v_mul_f64 v[0:1], v[18:19], v[215:216]
	s_delay_alu instid0(VALU_DEP_1) | instskip(SKIP_1) | instid1(VALU_DEP_1)
	v_fma_f64 v[126:127], v[16:17], v[213:214], -v[0:1]
	v_mul_f64 v[0:1], v[16:17], v[215:216]
	v_fma_f64 v[32:33], v[18:19], v[213:214], v[0:1]
	v_add_f64 v[0:1], v[92:93], v[46:47]
	ds_load_b128 v[16:19], v124
	s_waitcnt lgkmcnt(0)
	v_add_f64 v[2:3], v[18:19], v[120:121]
	v_fma_f64 v[143:144], v[0:1], -0.5, v[16:17]
	v_add_f64 v[0:1], v[131:132], v[30:31]
	s_delay_alu instid0(VALU_DEP_3) | instskip(NEXT) | instid1(VALU_DEP_2)
	v_add_f64 v[2:3], v[2:3], v[100:101]
	v_fma_f64 v[133:134], v[0:1], -0.5, v[16:17]
	v_add_f64 v[0:1], v[100:101], v[90:91]
	s_delay_alu instid0(VALU_DEP_3) | instskip(NEXT) | instid1(VALU_DEP_2)
	;; [unrolled: 4-line block ×3, first 2 shown]
	v_add_f64 v[2:3], v[2:3], v[76:77]
	v_fma_f64 v[150:151], v[0:1], -0.5, v[18:19]
	v_add_f64 v[0:1], v[16:17], v[131:132]
	v_add_f64 v[16:17], v[174:175], v[104:105]
	;; [unrolled: 1-line block ×3, first 2 shown]
	s_delay_alu instid0(VALU_DEP_3) | instskip(NEXT) | instid1(VALU_DEP_3)
	v_add_f64 v[0:1], v[0:1], v[92:93]
	v_add_f64 v[16:17], v[16:17], v[48:49]
	s_delay_alu instid0(VALU_DEP_3) | instskip(NEXT) | instid1(VALU_DEP_3)
	v_add_f64 v[18:19], v[18:19], v[72:73]
	v_add_f64 v[0:1], v[0:1], v[46:47]
	;; [unrolled: 3-line block ×4, first 2 shown]
	s_delay_alu instid0(VALU_DEP_3) | instskip(NEXT) | instid1(VALU_DEP_2)
	v_add_f64 v[18:19], v[18:19], v[28:29]
	v_add_f64 v[160:161], v[0:1], v[16:17]
	v_add_f64 v[168:169], v[0:1], -v[16:17]
	v_add_f64 v[0:1], v[50:51], v[40:41]
	s_delay_alu instid0(VALU_DEP_4)
	v_add_f64 v[162:163], v[2:3], v[18:19]
	v_add_f64 v[170:171], v[2:3], -v[18:19]
	ds_load_b128 v[16:19], v124 offset:1600
	s_waitcnt lgkmcnt(0)
	v_add_f64 v[2:3], v[18:19], v[96:97]
	v_fma_f64 v[139:140], v[0:1], -0.5, v[16:17]
	v_add_f64 v[0:1], v[86:87], v[24:25]
	s_delay_alu instid0(VALU_DEP_3) | instskip(NEXT) | instid1(VALU_DEP_2)
	v_add_f64 v[2:3], v[2:3], v[88:89]
	v_fma_f64 v[137:138], v[0:1], -0.5, v[16:17]
	v_add_f64 v[0:1], v[88:89], v[94:95]
	s_delay_alu instid0(VALU_DEP_3) | instskip(NEXT) | instid1(VALU_DEP_2)
	;; [unrolled: 4-line block ×3, first 2 shown]
	v_add_f64 v[2:3], v[2:3], v[102:103]
	v_fma_f64 v[146:147], v[0:1], -0.5, v[18:19]
	v_add_f64 v[0:1], v[16:17], v[86:87]
	v_add_f64 v[16:17], v[192:193], v[52:53]
	;; [unrolled: 1-line block ×3, first 2 shown]
	s_delay_alu instid0(VALU_DEP_3) | instskip(NEXT) | instid1(VALU_DEP_3)
	v_add_f64 v[0:1], v[0:1], v[50:51]
	v_add_f64 v[16:17], v[16:17], v[80:81]
	s_delay_alu instid0(VALU_DEP_3) | instskip(NEXT) | instid1(VALU_DEP_3)
	v_add_f64 v[18:19], v[18:19], v[42:43]
	v_add_f64 v[0:1], v[0:1], v[40:41]
	;; [unrolled: 3-line block ×4, first 2 shown]
	s_delay_alu instid0(VALU_DEP_3) | instskip(NEXT) | instid1(VALU_DEP_2)
	v_add_f64 v[18:19], v[18:19], v[14:15]
	v_add_f64 v[112:113], v[0:1], v[16:17]
	v_add_f64 v[68:69], v[0:1], -v[16:17]
	v_add_f64 v[0:1], v[44:45], v[36:37]
	s_delay_alu instid0(VALU_DEP_4)
	v_add_f64 v[114:115], v[2:3], v[18:19]
	v_add_f64 v[70:71], v[2:3], -v[18:19]
	ds_load_b128 v[16:19], v124 offset:3200
	s_waitcnt lgkmcnt(0)
	v_add_f64 v[2:3], v[18:19], v[84:85]
	v_fma_f64 v[108:109], v[0:1], -0.5, v[16:17]
	v_add_f64 v[0:1], v[56:57], v[141:142]
	s_delay_alu instid0(VALU_DEP_3) | instskip(NEXT) | instid1(VALU_DEP_2)
	v_add_f64 v[2:3], v[2:3], v[78:79]
	v_fma_f64 v[158:159], v[0:1], -0.5, v[16:17]
	v_add_f64 v[0:1], v[78:79], v[66:67]
	s_delay_alu instid0(VALU_DEP_3) | instskip(NEXT) | instid1(VALU_DEP_2)
	;; [unrolled: 4-line block ×3, first 2 shown]
	v_add_f64 v[2:3], v[2:3], v[122:123]
	v_fma_f64 v[110:111], v[0:1], -0.5, v[18:19]
	v_add_f64 v[0:1], v[16:17], v[56:57]
	v_add_f64 v[16:17], v[172:173], v[82:83]
	;; [unrolled: 1-line block ×3, first 2 shown]
	s_delay_alu instid0(VALU_DEP_3) | instskip(NEXT) | instid1(VALU_DEP_3)
	v_add_f64 v[0:1], v[0:1], v[44:45]
	v_add_f64 v[16:17], v[16:17], v[62:63]
	s_delay_alu instid0(VALU_DEP_3) | instskip(NEXT) | instid1(VALU_DEP_3)
	v_add_f64 v[18:19], v[18:19], v[38:39]
	v_add_f64 v[0:1], v[0:1], v[36:37]
	s_delay_alu instid0(VALU_DEP_3) | instskip(NEXT) | instid1(VALU_DEP_3)
	v_add_f64 v[16:17], v[16:17], v[118:119]
	v_add_f64 v[18:19], v[18:19], v[34:35]
	s_delay_alu instid0(VALU_DEP_3) | instskip(NEXT) | instid1(VALU_DEP_3)
	v_add_f64 v[0:1], v[0:1], v[141:142]
	v_add_f64 v[20:21], v[16:17], v[126:127]
	s_delay_alu instid0(VALU_DEP_3) | instskip(SKIP_1) | instid1(VALU_DEP_3)
	v_add_f64 v[22:23], v[18:19], v[32:33]
	v_add_f64 v[16:17], v[72:73], v[128:129]
	;; [unrolled: 1-line block ×3, first 2 shown]
	s_delay_alu instid0(VALU_DEP_3)
	v_add_f64 v[60:61], v[2:3], v[22:23]
	v_add_f64 v[20:21], v[0:1], -v[20:21]
	v_add_f64 v[22:23], v[2:3], -v[22:23]
	;; [unrolled: 1-line block ×4, first 2 shown]
	v_fma_f64 v[10:11], v[16:17], -0.5, v[156:157]
	s_delay_alu instid0(VALU_DEP_2) | instskip(SKIP_2) | instid1(VALU_DEP_4)
	v_add_f64 v[135:136], v[0:1], v[2:3]
	v_add_f64 v[0:1], v[120:121], -v[100:101]
	v_add_f64 v[2:3], v[76:77], -v[90:91]
	v_fma_f64 v[16:17], v[222:223], s[14:15], v[10:11]
	v_add_f64 v[76:77], v[90:91], -v[76:77]
	v_add_f64 v[90:91], v[104:105], v[74:75]
	v_fma_f64 v[10:11], v[222:223], s[12:13], v[10:11]
	v_add_f64 v[195:196], v[0:1], v[2:3]
	v_add_f64 v[0:1], v[104:105], -v[48:49]
	v_add_f64 v[2:3], v[74:75], -v[154:155]
	v_fma_f64 v[16:17], v[6:7], s[8:9], v[16:17]
	v_fma_f64 v[90:91], v[90:91], -0.5, v[174:175]
	v_add_f64 v[74:75], v[154:155], -v[74:75]
	s_delay_alu instid0(VALU_DEP_4) | instskip(SKIP_3) | instid1(VALU_DEP_2)
	v_add_f64 v[197:198], v[0:1], v[2:3]
	v_add_f64 v[0:1], v[116:117], -v[72:73]
	v_add_f64 v[2:3], v[28:29], -v[128:129]
	;; [unrolled: 1-line block ×3, first 2 shown]
	v_add_f64 v[12:13], v[0:1], v[2:3]
	v_add_f64 v[2:3], v[48:49], v[154:155]
	v_add_f64 v[48:49], v[48:49], -v[104:105]
	s_delay_alu instid0(VALU_DEP_3) | instskip(NEXT) | instid1(VALU_DEP_3)
	v_fma_f64 v[16:17], v[12:13], s[16:17], v[16:17]
	v_fma_f64 v[8:9], v[2:3], -0.5, v[174:175]
	v_add_f64 v[2:3], v[131:132], -v[30:31]
	v_add_f64 v[30:31], v[46:47], -v[30:31]
	;; [unrolled: 1-line block ×3, first 2 shown]
	v_add_f64 v[74:75], v[48:49], v[74:75]
	v_add_f64 v[174:175], v[50:51], -v[40:41]
	v_mul_f64 v[200:201], v[16:17], s[2:3]
	v_fma_f64 v[18:19], v[190:191], s[12:13], v[8:9]
	v_add_f64 v[76:77], v[46:47], v[76:77]
	s_delay_alu instid0(VALU_DEP_2) | instskip(NEXT) | instid1(VALU_DEP_1)
	v_fma_f64 v[18:19], v[4:5], s[2:3], v[18:19]
	v_fma_f64 v[18:19], v[197:198], s[16:17], v[18:19]
	s_delay_alu instid0(VALU_DEP_1) | instskip(SKIP_1) | instid1(VALU_DEP_1)
	v_fma_f64 v[200:201], v[18:19], s[18:19], v[200:201]
	v_mul_f64 v[18:19], v[18:19], s[8:9]
	v_fma_f64 v[202:203], v[16:17], s[18:19], v[18:19]
	v_fma_f64 v[16:17], v[188:189], s[12:13], v[143:144]
	;; [unrolled: 1-line block ×3, first 2 shown]
	s_delay_alu instid0(VALU_DEP_2) | instskip(NEXT) | instid1(VALU_DEP_2)
	v_fma_f64 v[16:17], v[185:186], s[2:3], v[16:17]
	v_fma_f64 v[18:19], v[183:184], s[8:9], v[18:19]
	s_delay_alu instid0(VALU_DEP_2) | instskip(NEXT) | instid1(VALU_DEP_2)
	v_fma_f64 v[0:1], v[135:136], s[16:17], v[16:17]
	v_fma_f64 v[180:181], v[195:196], s[16:17], v[18:19]
	s_delay_alu instid0(VALU_DEP_2)
	v_add_f64 v[16:17], v[0:1], v[200:201]
	v_add_f64 v[200:201], v[0:1], -v[200:201]
	v_add_f64 v[0:1], v[92:93], -v[131:132]
	v_add_f64 v[92:93], v[116:117], v[28:29]
	v_add_f64 v[28:29], v[128:129], -v[28:29]
	v_add_f64 v[116:117], v[42:43], -v[26:27]
	;; [unrolled: 1-line block ×3, first 2 shown]
	v_add_f64 v[18:19], v[180:181], v[202:203]
	v_add_f64 v[202:203], v[180:181], -v[202:203]
	v_add_f64 v[0:1], v[0:1], v[30:31]
	v_fma_f64 v[92:93], v[92:93], -0.5, v[156:157]
	v_add_f64 v[72:73], v[72:73], v[28:29]
	v_fma_f64 v[30:31], v[4:5], s[14:15], v[90:91]
	v_fma_f64 v[90:91], v[4:5], s[12:13], v[90:91]
	s_delay_alu instid0(VALU_DEP_4) | instskip(NEXT) | instid1(VALU_DEP_3)
	v_fma_f64 v[28:29], v[6:7], s[12:13], v[92:93]
	v_fma_f64 v[30:31], v[190:191], s[2:3], v[30:31]
	s_delay_alu instid0(VALU_DEP_3) | instskip(NEXT) | instid1(VALU_DEP_3)
	v_fma_f64 v[90:91], v[190:191], s[8:9], v[90:91]
	v_fma_f64 v[28:29], v[222:223], s[8:9], v[28:29]
	s_delay_alu instid0(VALU_DEP_3) | instskip(NEXT) | instid1(VALU_DEP_3)
	v_fma_f64 v[30:31], v[74:75], s[16:17], v[30:31]
	v_fma_f64 v[74:75], v[74:75], s[16:17], v[90:91]
	;; [unrolled: 1-line block ×4, first 2 shown]
	v_add_f64 v[10:11], v[42:43], v[26:27]
	v_fma_f64 v[28:29], v[72:73], s[16:17], v[28:29]
	s_delay_alu instid0(VALU_DEP_4) | instskip(NEXT) | instid1(VALU_DEP_4)
	v_fma_f64 v[90:91], v[222:223], s[2:3], v[90:91]
	v_fma_f64 v[6:7], v[12:13], s[16:17], v[6:7]
	s_delay_alu instid0(VALU_DEP_4) | instskip(NEXT) | instid1(VALU_DEP_4)
	v_fma_f64 v[10:11], v[10:11], -0.5, v[254:255]
	v_mul_f64 v[46:47], v[28:29], s[12:13]
	s_delay_alu instid0(VALU_DEP_4) | instskip(SKIP_1) | instid1(VALU_DEP_3)
	v_fma_f64 v[72:73], v[72:73], s[16:17], v[90:91]
	v_mul_f64 v[90:91], v[74:75], s[22:23]
	v_fma_f64 v[46:47], v[30:31], s[16:17], v[46:47]
	v_mul_f64 v[30:31], v[30:31], s[14:15]
	s_delay_alu instid0(VALU_DEP_3) | instskip(SKIP_1) | instid1(VALU_DEP_3)
	v_fma_f64 v[90:91], v[72:73], s[12:13], v[90:91]
	v_mul_f64 v[72:73], v[72:73], s[22:23]
	v_fma_f64 v[48:49], v[28:29], s[16:17], v[30:31]
	v_fma_f64 v[28:29], v[185:186], s[14:15], v[133:134]
	;; [unrolled: 1-line block ×3, first 2 shown]
	s_delay_alu instid0(VALU_DEP_4) | instskip(NEXT) | instid1(VALU_DEP_3)
	v_fma_f64 v[92:93], v[74:75], s[14:15], v[72:73]
	v_fma_f64 v[28:29], v[188:189], s[2:3], v[28:29]
	s_delay_alu instid0(VALU_DEP_3) | instskip(NEXT) | instid1(VALU_DEP_2)
	v_fma_f64 v[30:31], v[2:3], s[8:9], v[30:31]
	v_fma_f64 v[100:101], v[0:1], s[16:17], v[28:29]
	s_delay_alu instid0(VALU_DEP_2) | instskip(NEXT) | instid1(VALU_DEP_2)
	v_fma_f64 v[104:105], v[76:77], s[16:17], v[30:31]
	v_add_f64 v[28:29], v[100:101], v[46:47]
	v_add_f64 v[46:47], v[100:101], -v[46:47]
	v_fma_f64 v[100:101], v[185:186], s[12:13], v[133:134]
	s_delay_alu instid0(VALU_DEP_4) | instskip(SKIP_2) | instid1(VALU_DEP_4)
	v_add_f64 v[30:31], v[104:105], v[48:49]
	v_add_f64 v[48:49], v[104:105], -v[48:49]
	v_add_f64 v[104:105], v[64:65], -v[14:15]
	v_fma_f64 v[100:101], v[188:189], s[8:9], v[100:101]
	s_delay_alu instid0(VALU_DEP_1) | instskip(SKIP_1) | instid1(VALU_DEP_2)
	v_fma_f64 v[0:1], v[0:1], s[16:17], v[100:101]
	v_fma_f64 v[100:101], v[183:184], s[14:15], v[150:151]
	v_add_f64 v[72:73], v[0:1], v[90:91]
	v_add_f64 v[90:91], v[0:1], -v[90:91]
	v_fma_f64 v[0:1], v[190:191], s[14:15], v[8:9]
	v_fma_f64 v[8:9], v[188:189], s[14:15], v[143:144]
	;; [unrolled: 1-line block ×4, first 2 shown]
	v_add_f64 v[143:144], v[86:87], -v[24:25]
	v_fma_f64 v[0:1], v[4:5], s[8:9], v[0:1]
	v_fma_f64 v[4:5], v[185:186], s[8:9], v[8:9]
	;; [unrolled: 1-line block ×4, first 2 shown]
	v_add_f64 v[100:101], v[80:81], -v[98:99]
	v_fma_f64 v[0:1], v[197:198], s[16:17], v[0:1]
	v_fma_f64 v[4:5], v[135:136], s[16:17], v[4:5]
	v_add_f64 v[74:75], v[76:77], v[92:93]
	v_fma_f64 v[2:3], v[195:196], s[16:17], v[2:3]
	v_add_f64 v[92:93], v[76:77], -v[92:93]
	v_add_f64 v[76:77], v[52:53], -v[106:107]
	v_fma_f64 v[135:136], v[143:144], s[14:15], v[148:149]
	v_mul_f64 v[8:9], v[0:1], s[20:21]
	s_delay_alu instid0(VALU_DEP_3) | instskip(NEXT) | instid1(VALU_DEP_3)
	v_fma_f64 v[12:13], v[76:77], s[14:15], v[10:11]
	v_fma_f64 v[135:136], v[174:175], s[8:9], v[135:136]
	;; [unrolled: 1-line block ×3, first 2 shown]
	s_delay_alu instid0(VALU_DEP_4) | instskip(SKIP_2) | instid1(VALU_DEP_4)
	v_fma_f64 v[8:9], v[6:7], s[2:3], v[8:9]
	v_mul_f64 v[6:7], v[6:7], s[20:21]
	v_fma_f64 v[12:13], v[100:101], s[8:9], v[12:13]
	v_fma_f64 v[10:11], v[100:101], s[2:3], v[10:11]
	s_delay_alu instid0(VALU_DEP_4) | instskip(NEXT) | instid1(VALU_DEP_4)
	v_add_f64 v[150:151], v[4:5], v[8:9]
	v_fma_f64 v[0:1], v[0:1], s[8:9], v[6:7]
	v_add_f64 v[154:155], v[4:5], -v[8:9]
	v_add_f64 v[4:5], v[102:103], -v[94:95]
	;; [unrolled: 1-line block ×4, first 2 shown]
	v_add_f64 v[152:153], v[2:3], v[0:1]
	v_add_f64 v[156:157], v[2:3], -v[0:1]
	v_add_f64 v[0:1], v[86:87], -v[50:51]
	;; [unrolled: 1-line block ×5, first 2 shown]
	s_delay_alu instid0(VALU_DEP_3) | instskip(SKIP_1) | instid1(VALU_DEP_1)
	v_add_f64 v[0:1], v[0:1], v[2:3]
	v_add_f64 v[2:3], v[96:97], -v[88:89]
	v_add_f64 v[2:3], v[2:3], v[4:5]
	v_add_f64 v[4:5], v[52:53], -v[80:81]
	s_delay_alu instid0(VALU_DEP_2) | instskip(NEXT) | instid1(VALU_DEP_2)
	v_fma_f64 v[135:136], v[2:3], s[16:17], v[135:136]
	v_add_f64 v[4:5], v[4:5], v[6:7]
	v_add_f64 v[6:7], v[64:65], -v[42:43]
	v_add_f64 v[42:43], v[42:43], -v[64:65]
	v_add_f64 v[64:65], v[64:65], v[14:15]
	v_add_f64 v[14:15], v[26:27], -v[14:15]
	s_delay_alu instid0(VALU_DEP_4)
	v_add_f64 v[6:7], v[6:7], v[8:9]
	v_add_f64 v[8:9], v[80:81], v[98:99]
	v_add_f64 v[80:81], v[80:81], -v[52:53]
	v_add_f64 v[52:53], v[52:53], v[106:107]
	v_fma_f64 v[64:65], v[64:65], -0.5, v[254:255]
	v_add_f64 v[42:43], v[42:43], v[14:15]
	v_fma_f64 v[12:13], v[6:7], s[16:17], v[12:13]
	v_fma_f64 v[8:9], v[8:9], -0.5, v[192:193]
	v_fma_f64 v[6:7], v[6:7], s[16:17], v[10:11]
	s_delay_alu instid0(VALU_DEP_3) | instskip(NEXT) | instid1(VALU_DEP_3)
	v_mul_f64 v[128:129], v[12:13], s[2:3]
	v_fma_f64 v[120:121], v[104:105], s[12:13], v[8:9]
	v_fma_f64 v[8:9], v[104:105], s[14:15], v[8:9]
	s_delay_alu instid0(VALU_DEP_2) | instskip(NEXT) | instid1(VALU_DEP_2)
	v_fma_f64 v[120:121], v[116:117], s[2:3], v[120:121]
	v_fma_f64 v[8:9], v[116:117], s[8:9], v[8:9]
	s_delay_alu instid0(VALU_DEP_2) | instskip(NEXT) | instid1(VALU_DEP_2)
	v_fma_f64 v[120:121], v[4:5], s[16:17], v[120:121]
	v_fma_f64 v[4:5], v[4:5], s[16:17], v[8:9]
	s_delay_alu instid0(VALU_DEP_2) | instskip(SKIP_1) | instid1(VALU_DEP_3)
	v_fma_f64 v[128:129], v[120:121], s[18:19], v[128:129]
	v_mul_f64 v[120:121], v[120:121], s[8:9]
	v_mul_f64 v[8:9], v[4:5], s[20:21]
	s_delay_alu instid0(VALU_DEP_2) | instskip(SKIP_1) | instid1(VALU_DEP_3)
	v_fma_f64 v[12:13], v[12:13], s[18:19], v[120:121]
	v_add_f64 v[120:121], v[96:97], -v[102:103]
	v_fma_f64 v[8:9], v[6:7], s[2:3], v[8:9]
	v_mul_f64 v[6:7], v[6:7], s[20:21]
	s_delay_alu instid0(VALU_DEP_4)
	v_add_f64 v[197:198], v[135:136], v[12:13]
	v_add_f64 v[135:136], v[135:136], -v[12:13]
	v_add_f64 v[12:13], v[50:51], -v[86:87]
	v_add_f64 v[50:51], v[94:95], -v[102:103]
	v_add_f64 v[86:87], v[98:99], -v[106:107]
	v_fma_f64 v[133:134], v[120:121], s[12:13], v[139:140]
	v_fma_f64 v[4:5], v[4:5], s[8:9], v[6:7]
	v_add_f64 v[6:7], v[126:127], -v[118:119]
	v_add_f64 v[88:89], v[12:13], v[24:25]
	v_add_f64 v[40:41], v[40:41], v[50:51]
	v_fma_f64 v[50:51], v[52:53], -0.5, v[192:193]
	v_fma_f64 v[12:13], v[100:101], s[12:13], v[64:65]
	v_add_f64 v[52:53], v[80:81], v[86:87]
	v_fma_f64 v[133:134], v[131:132], s[2:3], v[133:134]
	s_delay_alu instid0(VALU_DEP_4) | instskip(NEXT) | instid1(VALU_DEP_4)
	v_fma_f64 v[14:15], v[116:117], s[14:15], v[50:51]
	v_fma_f64 v[12:13], v[76:77], s[8:9], v[12:13]
	s_delay_alu instid0(VALU_DEP_3) | instskip(NEXT) | instid1(VALU_DEP_3)
	v_fma_f64 v[133:134], v[0:1], s[16:17], v[133:134]
	v_fma_f64 v[14:15], v[104:105], s[2:3], v[14:15]
	s_delay_alu instid0(VALU_DEP_3) | instskip(NEXT) | instid1(VALU_DEP_3)
	v_fma_f64 v[12:13], v[42:43], s[16:17], v[12:13]
	v_add_f64 v[195:196], v[133:134], v[128:129]
	v_add_f64 v[133:134], v[133:134], -v[128:129]
	v_add_f64 v[128:129], v[54:55], -v[32:33]
	v_fma_f64 v[14:15], v[52:53], s[16:17], v[14:15]
	v_mul_f64 v[24:25], v[12:13], s[12:13]
	s_delay_alu instid0(VALU_DEP_1) | instskip(SKIP_1) | instid1(VALU_DEP_1)
	v_fma_f64 v[24:25], v[14:15], s[16:17], v[24:25]
	v_mul_f64 v[14:15], v[14:15], s[14:15]
	v_fma_f64 v[26:27], v[12:13], s[16:17], v[14:15]
	v_fma_f64 v[14:15], v[174:175], s[12:13], v[146:147]
	;; [unrolled: 1-line block ×3, first 2 shown]
	s_delay_alu instid0(VALU_DEP_2) | instskip(NEXT) | instid1(VALU_DEP_2)
	v_fma_f64 v[14:15], v[143:144], s[8:9], v[14:15]
	v_fma_f64 v[12:13], v[120:121], s[2:3], v[12:13]
	s_delay_alu instid0(VALU_DEP_2) | instskip(NEXT) | instid1(VALU_DEP_2)
	v_fma_f64 v[86:87], v[40:41], s[16:17], v[14:15]
	v_fma_f64 v[80:81], v[88:89], s[16:17], v[12:13]
	s_delay_alu instid0(VALU_DEP_2) | instskip(SKIP_2) | instid1(VALU_DEP_4)
	v_add_f64 v[14:15], v[86:87], v[26:27]
	v_add_f64 v[26:27], v[86:87], -v[26:27]
	v_fma_f64 v[86:87], v[174:175], s[14:15], v[146:147]
	v_add_f64 v[12:13], v[80:81], v[24:25]
	v_add_f64 v[24:25], v[80:81], -v[24:25]
	v_fma_f64 v[80:81], v[131:132], s[12:13], v[137:138]
	v_add_f64 v[137:138], v[84:85], -v[122:123]
	v_add_f64 v[145:146], v[44:45], -v[36:37]
	v_fma_f64 v[86:87], v[143:144], s[2:3], v[86:87]
	s_delay_alu instid0(VALU_DEP_4) | instskip(NEXT) | instid1(VALU_DEP_2)
	v_fma_f64 v[80:81], v[120:121], s[8:9], v[80:81]
	v_fma_f64 v[86:87], v[40:41], s[16:17], v[86:87]
	;; [unrolled: 1-line block ×4, first 2 shown]
	s_delay_alu instid0(VALU_DEP_4)
	v_fma_f64 v[80:81], v[88:89], s[16:17], v[80:81]
	v_fma_f64 v[64:65], v[120:121], s[14:15], v[139:140]
	v_add_f64 v[116:117], v[82:83], -v[126:127]
	v_add_f64 v[120:121], v[62:63], -v[118:119]
	;; [unrolled: 1-line block ×3, first 2 shown]
	v_fma_f64 v[40:41], v[104:105], s[8:9], v[40:41]
	v_fma_f64 v[50:51], v[76:77], s[2:3], v[50:51]
	;; [unrolled: 1-line block ×3, first 2 shown]
	v_add_f64 v[131:132], v[38:39], -v[34:35]
	s_delay_alu instid0(VALU_DEP_4) | instskip(NEXT) | instid1(VALU_DEP_4)
	v_fma_f64 v[40:41], v[52:53], s[16:17], v[40:41]
	v_fma_f64 v[42:43], v[42:43], s[16:17], v[50:51]
	s_delay_alu instid0(VALU_DEP_4) | instskip(NEXT) | instid1(VALU_DEP_3)
	v_fma_f64 v[0:1], v[0:1], s[16:17], v[64:65]
	v_mul_f64 v[50:51], v[40:41], s[22:23]
	s_delay_alu instid0(VALU_DEP_2) | instskip(NEXT) | instid1(VALU_DEP_2)
	v_add_f64 v[94:95], v[0:1], -v[8:9]
	v_fma_f64 v[50:51], v[42:43], s[12:13], v[50:51]
	v_mul_f64 v[42:43], v[42:43], s[22:23]
	s_delay_alu instid0(VALU_DEP_1) | instskip(NEXT) | instid1(VALU_DEP_3)
	v_fma_f64 v[52:53], v[40:41], s[14:15], v[42:43]
	v_add_f64 v[40:41], v[80:81], v[50:51]
	v_add_f64 v[50:51], v[80:81], -v[50:51]
	v_fma_f64 v[80:81], v[143:144], s[12:13], v[148:149]
	v_add_f64 v[143:144], v[56:57], -v[141:142]
	v_add_f64 v[42:43], v[86:87], v[52:53]
	v_add_f64 v[52:53], v[86:87], -v[52:53]
	v_add_f64 v[86:87], v[0:1], v[8:9]
	v_fma_f64 v[76:77], v[174:175], s[2:3], v[80:81]
	v_add_f64 v[0:1], v[56:57], -v[44:45]
	v_fma_f64 v[10:11], v[143:144], s[14:15], v[164:165]
	s_delay_alu instid0(VALU_DEP_3) | instskip(NEXT) | instid1(VALU_DEP_2)
	v_fma_f64 v[2:3], v[2:3], s[16:17], v[76:77]
	v_fma_f64 v[10:11], v[145:146], s[8:9], v[10:11]
	s_delay_alu instid0(VALU_DEP_2) | instskip(SKIP_3) | instid1(VALU_DEP_2)
	v_add_f64 v[88:89], v[2:3], v[4:5]
	v_add_f64 v[96:97], v[2:3], -v[4:5]
	v_add_f64 v[2:3], v[141:142], -v[36:37]
	;; [unrolled: 1-line block ×3, first 2 shown]
	v_add_f64 v[0:1], v[0:1], v[2:3]
	v_add_f64 v[2:3], v[84:85], -v[78:79]
	s_delay_alu instid0(VALU_DEP_1) | instskip(SKIP_1) | instid1(VALU_DEP_2)
	v_add_f64 v[2:3], v[2:3], v[4:5]
	v_add_f64 v[4:5], v[82:83], -v[62:63]
	v_fma_f64 v[10:11], v[2:3], s[16:17], v[10:11]
	s_delay_alu instid0(VALU_DEP_2) | instskip(SKIP_2) | instid1(VALU_DEP_1)
	v_add_f64 v[64:65], v[4:5], v[6:7]
	v_add_f64 v[4:5], v[54:55], -v[38:39]
	v_add_f64 v[6:7], v[32:33], -v[34:35]
	v_add_f64 v[76:77], v[4:5], v[6:7]
	v_add_f64 v[4:5], v[62:63], v[118:119]
	s_delay_alu instid0(VALU_DEP_1)
	v_fma_f64 v[80:81], v[4:5], -0.5, v[172:173]
	v_add_f64 v[4:5], v[38:39], v[34:35]
	v_add_f64 v[38:39], v[38:39], -v[54:55]
	v_add_f64 v[54:55], v[54:55], v[32:33]
	v_add_f64 v[32:33], v[34:35], -v[32:33]
	v_fma_f64 v[6:7], v[128:129], s[12:13], v[80:81]
	v_fma_f64 v[106:107], v[4:5], -0.5, v[166:167]
	s_delay_alu instid0(VALU_DEP_4) | instskip(NEXT) | instid1(VALU_DEP_4)
	v_fma_f64 v[34:35], v[54:55], -0.5, v[166:167]
	v_add_f64 v[32:33], v[38:39], v[32:33]
	s_delay_alu instid0(VALU_DEP_4) | instskip(NEXT) | instid1(VALU_DEP_4)
	v_fma_f64 v[6:7], v[131:132], s[2:3], v[6:7]
	v_fma_f64 v[4:5], v[116:117], s[14:15], v[106:107]
	s_delay_alu instid0(VALU_DEP_2) | instskip(NEXT) | instid1(VALU_DEP_2)
	v_fma_f64 v[6:7], v[64:65], s[16:17], v[6:7]
	v_fma_f64 v[4:5], v[120:121], s[8:9], v[4:5]
	s_delay_alu instid0(VALU_DEP_1) | instskip(NEXT) | instid1(VALU_DEP_1)
	v_fma_f64 v[4:5], v[76:77], s[16:17], v[4:5]
	v_mul_f64 v[8:9], v[4:5], s[2:3]
	s_delay_alu instid0(VALU_DEP_1) | instskip(SKIP_1) | instid1(VALU_DEP_1)
	v_fma_f64 v[8:9], v[6:7], s[18:19], v[8:9]
	v_mul_f64 v[6:7], v[6:7], s[8:9]
	v_fma_f64 v[4:5], v[4:5], s[18:19], v[6:7]
	v_fma_f64 v[6:7], v[137:138], s[12:13], v[108:109]
	s_delay_alu instid0(VALU_DEP_2) | instskip(NEXT) | instid1(VALU_DEP_2)
	v_add_f64 v[100:101], v[10:11], v[4:5]
	v_fma_f64 v[6:7], v[139:140], s[2:3], v[6:7]
	v_add_f64 v[104:105], v[10:11], -v[4:5]
	v_add_f64 v[4:5], v[44:45], -v[56:57]
	v_add_f64 v[44:45], v[82:83], v[126:127]
	v_add_f64 v[56:57], v[118:119], -v[126:127]
	v_add_f64 v[10:11], v[66:67], -v[122:123]
	v_fma_f64 v[6:7], v[0:1], s[16:17], v[6:7]
	s_delay_alu instid0(VALU_DEP_4) | instskip(NEXT) | instid1(VALU_DEP_2)
	v_fma_f64 v[44:45], v[44:45], -0.5, v[172:173]
	v_add_f64 v[98:99], v[6:7], v[8:9]
	v_add_f64 v[102:103], v[6:7], -v[8:9]
	v_add_f64 v[6:7], v[36:37], -v[141:142]
	;; [unrolled: 1-line block ×4, first 2 shown]
	s_delay_alu instid0(VALU_DEP_3)
	v_add_f64 v[54:55], v[4:5], v[6:7]
	v_fma_f64 v[4:5], v[120:121], s[12:13], v[34:35]
	v_fma_f64 v[6:7], v[131:132], s[14:15], v[44:45]
	v_add_f64 v[36:37], v[36:37], v[56:57]
	v_add_f64 v[62:63], v[8:9], v[10:11]
	v_fma_f64 v[44:45], v[131:132], s[12:13], v[44:45]
	v_fma_f64 v[34:35], v[120:121], s[14:15], v[34:35]
	;; [unrolled: 1-line block ×4, first 2 shown]
	s_delay_alu instid0(VALU_DEP_4) | instskip(NEXT) | instid1(VALU_DEP_4)
	v_fma_f64 v[44:45], v[128:129], s[8:9], v[44:45]
	v_fma_f64 v[34:35], v[116:117], s[2:3], v[34:35]
	s_delay_alu instid0(VALU_DEP_4) | instskip(NEXT) | instid1(VALU_DEP_4)
	v_fma_f64 v[4:5], v[32:33], s[16:17], v[4:5]
	v_fma_f64 v[6:7], v[36:37], s[16:17], v[6:7]
	;; [unrolled: 3-line block ×3, first 2 shown]
	s_delay_alu instid0(VALU_DEP_4) | instskip(NEXT) | instid1(VALU_DEP_3)
	v_mul_f64 v[8:9], v[4:5], s[12:13]
	v_mul_f64 v[34:35], v[36:37], s[22:23]
	s_delay_alu instid0(VALU_DEP_2) | instskip(SKIP_1) | instid1(VALU_DEP_3)
	v_fma_f64 v[8:9], v[6:7], s[16:17], v[8:9]
	v_mul_f64 v[6:7], v[6:7], s[14:15]
	v_fma_f64 v[44:45], v[32:33], s[12:13], v[34:35]
	v_mul_f64 v[32:33], v[32:33], s[22:23]
	s_delay_alu instid0(VALU_DEP_3) | instskip(SKIP_2) | instid1(VALU_DEP_2)
	v_fma_f64 v[10:11], v[4:5], s[16:17], v[6:7]
	v_fma_f64 v[4:5], v[139:140], s[14:15], v[158:159]
	;; [unrolled: 1-line block ×4, first 2 shown]
	s_delay_alu instid0(VALU_DEP_2) | instskip(NEXT) | instid1(VALU_DEP_2)
	v_fma_f64 v[6:7], v[143:144], s[8:9], v[6:7]
	v_fma_f64 v[38:39], v[54:55], s[16:17], v[4:5]
	s_delay_alu instid0(VALU_DEP_2) | instskip(NEXT) | instid1(VALU_DEP_2)
	v_fma_f64 v[56:57], v[62:63], s[16:17], v[6:7]
	v_add_f64 v[4:5], v[38:39], v[8:9]
	v_add_f64 v[8:9], v[38:39], -v[8:9]
	v_fma_f64 v[38:39], v[139:140], s[12:13], v[158:159]
	s_delay_alu instid0(VALU_DEP_4) | instskip(SKIP_2) | instid1(VALU_DEP_4)
	v_add_f64 v[6:7], v[56:57], v[10:11]
	v_add_f64 v[10:11], v[56:57], -v[10:11]
	v_fma_f64 v[56:57], v[36:37], s[14:15], v[32:33]
	v_fma_f64 v[38:39], v[137:138], s[8:9], v[38:39]
	s_delay_alu instid0(VALU_DEP_1) | instskip(SKIP_1) | instid1(VALU_DEP_2)
	v_fma_f64 v[38:39], v[54:55], s[16:17], v[38:39]
	v_fma_f64 v[54:55], v[145:146], s[14:15], v[110:111]
	v_add_f64 v[32:33], v[38:39], v[44:45]
	s_delay_alu instid0(VALU_DEP_2) | instskip(SKIP_2) | instid1(VALU_DEP_3)
	v_fma_f64 v[54:55], v[143:144], s[2:3], v[54:55]
	v_add_f64 v[36:37], v[38:39], -v[44:45]
	v_fma_f64 v[44:45], v[128:129], s[14:15], v[80:81]
	v_fma_f64 v[54:55], v[62:63], s[16:17], v[54:55]
	;; [unrolled: 1-line block ×3, first 2 shown]
	s_delay_alu instid0(VALU_DEP_3) | instskip(NEXT) | instid1(VALU_DEP_3)
	v_fma_f64 v[44:45], v[131:132], s[8:9], v[44:45]
	v_add_f64 v[34:35], v[54:55], v[56:57]
	v_add_f64 v[38:39], v[54:55], -v[56:57]
	v_fma_f64 v[54:55], v[137:138], s[14:15], v[108:109]
	v_fma_f64 v[56:57], v[143:144], s[12:13], v[164:165]
	;; [unrolled: 1-line block ×4, first 2 shown]
	s_delay_alu instid0(VALU_DEP_4) | instskip(NEXT) | instid1(VALU_DEP_4)
	v_fma_f64 v[54:55], v[139:140], s[8:9], v[54:55]
	v_fma_f64 v[56:57], v[145:146], s[2:3], v[56:57]
	s_delay_alu instid0(VALU_DEP_2) | instskip(NEXT) | instid1(VALU_DEP_2)
	v_fma_f64 v[0:1], v[0:1], s[16:17], v[54:55]
	v_fma_f64 v[2:3], v[2:3], s[16:17], v[56:57]
	;; [unrolled: 1-line block ×3, first 2 shown]
	v_mul_f64 v[56:57], v[44:45], s[20:21]
	s_delay_alu instid0(VALU_DEP_1) | instskip(SKIP_1) | instid1(VALU_DEP_2)
	v_fma_f64 v[62:63], v[54:55], s[2:3], v[56:57]
	v_mul_f64 v[54:55], v[54:55], s[20:21]
	v_add_f64 v[64:65], v[0:1], -v[62:63]
	s_delay_alu instid0(VALU_DEP_2) | instskip(SKIP_1) | instid1(VALU_DEP_2)
	v_fma_f64 v[44:45], v[44:45], s[8:9], v[54:55]
	v_add_f64 v[54:55], v[0:1], v[62:63]
	v_add_f64 v[56:57], v[2:3], v[44:45]
	v_add_f64 v[66:67], v[2:3], -v[44:45]
	ds_store_b128 v124, v[160:163]
	ds_store_b128 v124, v[168:171] offset:24000
	ds_store_b128 v124, v[112:115] offset:1600
	;; [unrolled: 1-line block ×29, first 2 shown]
	s_waitcnt lgkmcnt(0)
	s_waitcnt_vscnt null, 0x0
	s_barrier
	buffer_gl0_inv
	scratch_load_b64 v[0:1], off, off offset:1388 ; 8-byte Folded Reload
	ds_load_b128 v[14:17], v124 offset:9600
	ds_load_b128 v[74:77], v124 offset:11200
	;; [unrolled: 1-line block ×27, first 2 shown]
	s_waitcnt vmcnt(0)
	global_load_b128 v[4:7], v[0:1], off offset:2944
	ds_load_b128 v[0:3], v124
	s_waitcnt vmcnt(0) lgkmcnt(0)
	v_mul_f64 v[8:9], v[2:3], v[6:7]
	v_mul_f64 v[6:7], v[0:1], v[6:7]
	s_delay_alu instid0(VALU_DEP_2) | instskip(SKIP_2) | instid1(VALU_DEP_4)
	v_fma_f64 v[156:157], v[0:1], v[4:5], -v[8:9]
	v_add_co_u32 v0, vcc_lo, 0xc000, v125
	v_add_co_ci_u32_e32 v1, vcc_lo, 0, v130, vcc_lo
	v_fma_f64 v[158:159], v[2:3], v[4:5], v[6:7]
	ds_load_b128 v[8:11], v124 offset:4800
	global_load_b128 v[4:7], v[0:1], off offset:3648
	s_waitcnt vmcnt(0) lgkmcnt(0)
	v_mul_f64 v[0:1], v[10:11], v[6:7]
	v_mul_f64 v[2:3], v[8:9], v[6:7]
	s_delay_alu instid0(VALU_DEP_2) | instskip(SKIP_2) | instid1(VALU_DEP_4)
	v_fma_f64 v[6:7], v[8:9], v[4:5], -v[0:1]
	v_add_co_u32 v0, vcc_lo, 0xe000, v125
	v_add_co_ci_u32_e32 v1, vcc_lo, 0, v130, vcc_lo
	v_fma_f64 v[8:9], v[10:11], v[4:5], v[2:3]
	global_load_b128 v[10:13], v[0:1], off offset:256
	s_waitcnt vmcnt(0)
	v_mul_f64 v[2:3], v[16:17], v[12:13]
	v_mul_f64 v[4:5], v[14:15], v[12:13]
	s_delay_alu instid0(VALU_DEP_2) | instskip(SKIP_2) | instid1(VALU_DEP_4)
	v_fma_f64 v[12:13], v[14:15], v[10:11], -v[2:3]
	v_add_co_u32 v2, vcc_lo, 0xf000, v125
	v_add_co_ci_u32_e32 v3, vcc_lo, 0, v130, vcc_lo
	v_fma_f64 v[14:15], v[16:17], v[10:11], v[4:5]
	global_load_b128 v[16:19], v[2:3], off offset:960
	s_waitcnt vmcnt(0)
	;; [unrolled: 9-line block ×10, first 2 shown]
	v_mul_f64 v[52:53], v[70:71], v[66:67]
	v_mul_f64 v[58:59], v[68:69], v[66:67]
	s_delay_alu instid0(VALU_DEP_2) | instskip(NEXT) | instid1(VALU_DEP_2)
	v_fma_f64 v[66:67], v[68:69], v[64:65], -v[52:53]
	v_fma_f64 v[68:69], v[70:71], v[64:65], v[58:59]
	global_load_b128 v[70:73], v[0:1], off offset:1856
	s_waitcnt vmcnt(0)
	v_mul_f64 v[52:53], v[76:77], v[72:73]
	v_mul_f64 v[58:59], v[74:75], v[72:73]
	s_delay_alu instid0(VALU_DEP_2) | instskip(NEXT) | instid1(VALU_DEP_2)
	v_fma_f64 v[72:73], v[74:75], v[70:71], -v[52:53]
	v_fma_f64 v[74:75], v[76:77], v[70:71], v[58:59]
	global_load_b128 v[76:79], v[2:3], off offset:2560
	s_waitcnt vmcnt(0)
	;; [unrolled: 7-line block ×5, first 2 shown]
	v_mul_f64 v[2:3], v[100:101], v[96:97]
	v_mul_f64 v[52:53], v[98:99], v[96:97]
	s_delay_alu instid0(VALU_DEP_2) | instskip(SKIP_2) | instid1(VALU_DEP_4)
	v_fma_f64 v[96:97], v[98:99], v[94:95], -v[2:3]
	v_add_co_u32 v2, vcc_lo, 0x14000, v125
	v_add_co_ci_u32_e32 v3, vcc_lo, 0, v130, vcc_lo
	v_fma_f64 v[98:99], v[100:101], v[94:95], v[52:53]
	global_load_b128 v[100:103], v[2:3], off offset:1280
	s_waitcnt vmcnt(0)
	v_mul_f64 v[52:53], v[106:107], v[102:103]
	v_mul_f64 v[58:59], v[104:105], v[102:103]
	s_delay_alu instid0(VALU_DEP_2) | instskip(NEXT) | instid1(VALU_DEP_2)
	v_fma_f64 v[102:103], v[104:105], v[100:101], -v[52:53]
	v_fma_f64 v[104:105], v[106:107], v[100:101], v[58:59]
	global_load_b128 v[106:109], v[28:29], off offset:1984
	s_waitcnt vmcnt(0)
	v_mul_f64 v[52:53], v[112:113], v[108:109]
	v_mul_f64 v[58:59], v[110:111], v[108:109]
	s_delay_alu instid0(VALU_DEP_2) | instskip(NEXT) | instid1(VALU_DEP_2)
	v_fma_f64 v[108:109], v[110:111], v[106:107], -v[52:53]
	;; [unrolled: 7-line block ×11, first 2 shown]
	v_fma_f64 v[197:198], v[197:198], v[126:127], v[2:3]
	global_load_b128 v[126:129], v[28:29], off offset:3584
	s_waitcnt vmcnt(0)
	v_mul_f64 v[0:1], v[202:203], v[128:129]
	v_mul_f64 v[2:3], v[200:201], v[128:129]
	s_delay_alu instid0(VALU_DEP_2) | instskip(SKIP_2) | instid1(VALU_DEP_4)
	v_fma_f64 v[200:201], v[200:201], v[126:127], -v[0:1]
	v_add_co_u32 v0, vcc_lo, 0x17000, v125
	v_add_co_ci_u32_e32 v1, vcc_lo, 0, v130, vcc_lo
	v_fma_f64 v[202:203], v[202:203], v[126:127], v[2:3]
	global_load_b128 v[125:128], v[0:1], off offset:192
	ds_load_b128 v[0:3], v124 offset:46400
	s_waitcnt vmcnt(0) lgkmcnt(0)
	v_mul_f64 v[4:5], v[2:3], v[127:128]
	v_mul_f64 v[10:11], v[0:1], v[127:128]
	s_delay_alu instid0(VALU_DEP_2) | instskip(NEXT) | instid1(VALU_DEP_2)
	v_fma_f64 v[0:1], v[0:1], v[125:126], -v[4:5]
	v_fma_f64 v[2:3], v[2:3], v[125:126], v[10:11]
	ds_store_b128 v124, v[156:159]
	ds_store_b128 v124, v[6:9] offset:4800
	ds_store_b128 v124, v[12:15] offset:9600
	;; [unrolled: 1-line block ×29, first 2 shown]
	s_waitcnt lgkmcnt(0)
	s_barrier
	buffer_gl0_inv
	ds_load_b128 v[0:3], v124
	ds_load_b128 v[4:7], v124 offset:9600
	ds_load_b128 v[8:11], v124 offset:19200
	s_waitcnt lgkmcnt(1)
	v_add_f64 v[12:13], v[0:1], v[4:5]
	s_waitcnt lgkmcnt(0)
	v_add_f64 v[24:25], v[4:5], -v[8:9]
	v_add_f64 v[26:27], v[8:9], -v[4:5]
	;; [unrolled: 1-line block ×4, first 2 shown]
	v_add_f64 v[16:17], v[12:13], v[8:9]
	v_add_f64 v[12:13], v[2:3], v[6:7]
	s_delay_alu instid0(VALU_DEP_1)
	v_add_f64 v[18:19], v[12:13], v[10:11]
	ds_load_b128 v[12:15], v124 offset:28800
	s_waitcnt lgkmcnt(0)
	v_add_f64 v[20:21], v[8:9], v[12:13]
	v_add_f64 v[22:23], v[10:11], -v[14:15]
	v_add_f64 v[28:29], v[10:11], v[14:15]
	v_add_f64 v[30:31], v[8:9], -v[12:13]
	ds_load_b128 v[8:11], v124 offset:38400
	s_waitcnt lgkmcnt(0)
	v_add_f64 v[36:37], v[6:7], -v[10:11]
	v_add_f64 v[38:39], v[4:5], v[8:9]
	v_add_f64 v[72:73], v[4:5], -v[8:9]
	v_add_f64 v[40:41], v[6:7], v[10:11]
	v_add_f64 v[4:5], v[16:17], v[12:13]
	;; [unrolled: 1-line block ×3, first 2 shown]
	v_add_f64 v[42:43], v[8:9], -v[12:13]
	v_add_f64 v[56:57], v[12:13], -v[8:9]
	;; [unrolled: 1-line block ×4, first 2 shown]
	v_fma_f64 v[20:21], v[20:21], -0.5, v[0:1]
	v_fma_f64 v[28:29], v[28:29], -0.5, v[2:3]
	v_fma_f64 v[0:1], v[38:39], -0.5, v[0:1]
	v_fma_f64 v[2:3], v[40:41], -0.5, v[2:3]
	v_add_f64 v[46:47], v[4:5], v[8:9]
	v_add_f64 v[50:51], v[6:7], v[10:11]
	ds_load_b128 v[4:7], v124 offset:14400
	ds_load_b128 v[8:11], v124 offset:4800
	;; [unrolled: 1-line block ×3, first 2 shown]
	v_add_f64 v[26:27], v[26:27], v[56:57]
	s_waitcnt lgkmcnt(1)
	v_add_f64 v[16:17], v[8:9], v[4:5]
	s_waitcnt lgkmcnt(0)
	v_add_f64 v[60:61], v[4:5], -v[12:13]
	v_add_f64 v[62:63], v[12:13], -v[4:5]
	;; [unrolled: 1-line block ×4, first 2 shown]
	v_add_f64 v[48:49], v[16:17], v[12:13]
	v_add_f64 v[16:17], v[10:11], v[6:7]
	s_delay_alu instid0(VALU_DEP_1)
	v_add_f64 v[52:53], v[16:17], v[14:15]
	ds_load_b128 v[16:19], v124 offset:33600
	s_waitcnt lgkmcnt(0)
	v_add_f64 v[64:65], v[14:15], v[18:19]
	v_add_f64 v[48:49], v[48:49], v[16:17]
	;; [unrolled: 1-line block ×3, first 2 shown]
	v_add_f64 v[74:75], v[14:15], -v[18:19]
	v_add_f64 v[76:77], v[12:13], -v[16:17]
	ds_load_b128 v[12:15], v124 offset:43200
	v_add_f64 v[52:53], v[52:53], v[18:19]
	s_waitcnt lgkmcnt(0)
	v_add_f64 v[70:71], v[4:5], v[12:13]
	v_add_f64 v[4:5], v[4:5], -v[12:13]
	v_add_f64 v[80:81], v[12:13], -v[16:17]
	;; [unrolled: 1-line block ×4, first 2 shown]
	v_add_f64 v[6:7], v[6:7], v[14:15]
	v_add_f64 v[82:83], v[14:15], -v[18:19]
	v_add_f64 v[18:19], v[18:19], -v[14:15]
	v_fma_f64 v[38:39], v[64:65], -0.5, v[10:11]
	v_add_f64 v[12:13], v[48:49], v[12:13]
	v_fma_f64 v[84:85], v[54:55], -0.5, v[8:9]
	v_add_f64 v[14:15], v[52:53], v[14:15]
	;; [unrolled: 2-line block ×4, first 2 shown]
	v_add_f64 v[24:25], v[66:67], v[82:83]
	v_add_f64 v[18:19], v[68:69], v[18:19]
	;; [unrolled: 1-line block ×3, first 2 shown]
	v_add_f64 v[48:49], v[46:47], -v[12:13]
	v_add_f64 v[12:13], v[32:33], v[44:45]
	v_fma_f64 v[32:33], v[4:5], s[12:13], v[38:39]
	v_fma_f64 v[40:41], v[78:79], s[14:15], v[84:85]
	v_add_f64 v[54:55], v[50:51], v[14:15]
	v_add_f64 v[50:51], v[50:51], -v[14:15]
	v_add_f64 v[14:15], v[60:61], v[80:81]
	v_fma_f64 v[56:57], v[74:75], s[12:13], v[8:9]
	v_fma_f64 v[8:9], v[74:75], s[14:15], v[8:9]
	;; [unrolled: 1-line block ×4, first 2 shown]
	s_delay_alu instid0(VALU_DEP_4) | instskip(NEXT) | instid1(VALU_DEP_4)
	v_fma_f64 v[56:57], v[78:79], s[8:9], v[56:57]
	v_fma_f64 v[8:9], v[78:79], s[2:3], v[8:9]
	s_delay_alu instid0(VALU_DEP_4) | instskip(NEXT) | instid1(VALU_DEP_4)
	v_fma_f64 v[32:33], v[24:25], s[16:17], v[32:33]
	v_fma_f64 v[40:41], v[14:15], s[16:17], v[40:41]
	;; [unrolled: 3-line block ×3, first 2 shown]
	s_delay_alu instid0(VALU_DEP_4) | instskip(NEXT) | instid1(VALU_DEP_1)
	v_mul_f64 v[42:43], v[32:33], s[8:9]
	v_fma_f64 v[44:45], v[40:41], s[18:19], v[42:43]
	v_mul_f64 v[40:41], v[40:41], s[2:3]
	v_fma_f64 v[42:43], v[72:73], s[12:13], v[28:29]
	s_delay_alu instid0(VALU_DEP_2) | instskip(SKIP_1) | instid1(VALU_DEP_3)
	v_fma_f64 v[32:33], v[32:33], s[18:19], v[40:41]
	v_fma_f64 v[40:41], v[36:37], s[14:15], v[20:21]
	;; [unrolled: 1-line block ×3, first 2 shown]
	s_delay_alu instid0(VALU_DEP_2) | instskip(NEXT) | instid1(VALU_DEP_2)
	v_fma_f64 v[40:41], v[22:23], s[8:9], v[40:41]
	v_fma_f64 v[60:61], v[12:13], s[16:17], v[42:43]
	s_delay_alu instid0(VALU_DEP_2) | instskip(NEXT) | instid1(VALU_DEP_2)
	v_fma_f64 v[46:47], v[10:11], s[16:17], v[40:41]
	v_add_f64 v[42:43], v[60:61], v[32:33]
	s_delay_alu instid0(VALU_DEP_2)
	v_add_f64 v[40:41], v[46:47], v[44:45]
	v_add_f64 v[44:45], v[46:47], -v[44:45]
	v_add_f64 v[46:47], v[60:61], -v[32:33]
	v_add_f64 v[32:33], v[34:35], v[58:59]
	v_fma_f64 v[34:35], v[76:77], s[14:15], v[6:7]
	v_fma_f64 v[6:7], v[76:77], s[12:13], v[6:7]
	s_delay_alu instid0(VALU_DEP_2) | instskip(NEXT) | instid1(VALU_DEP_2)
	v_fma_f64 v[34:35], v[4:5], s[2:3], v[34:35]
	v_fma_f64 v[6:7], v[4:5], s[8:9], v[6:7]
	s_delay_alu instid0(VALU_DEP_2) | instskip(NEXT) | instid1(VALU_DEP_2)
	v_fma_f64 v[34:35], v[18:19], s[16:17], v[34:35]
	v_fma_f64 v[6:7], v[18:19], s[16:17], v[6:7]
	s_delay_alu instid0(VALU_DEP_2) | instskip(SKIP_1) | instid1(VALU_DEP_3)
	v_mul_f64 v[58:59], v[34:35], s[14:15]
	v_mul_f64 v[34:35], v[34:35], s[16:17]
	;; [unrolled: 1-line block ×4, first 2 shown]
	s_delay_alu instid0(VALU_DEP_4) | instskip(NEXT) | instid1(VALU_DEP_4)
	v_fma_f64 v[60:61], v[56:57], s[16:17], v[58:59]
	v_fma_f64 v[34:35], v[56:57], s[12:13], v[34:35]
	;; [unrolled: 1-line block ×12, first 2 shown]
	s_delay_alu instid0(VALU_DEP_4) | instskip(NEXT) | instid1(VALU_DEP_4)
	v_fma_f64 v[62:63], v[26:27], s[16:17], v[56:57]
	v_fma_f64 v[64:65], v[32:33], s[16:17], v[58:59]
	s_delay_alu instid0(VALU_DEP_4) | instskip(NEXT) | instid1(VALU_DEP_4)
	v_fma_f64 v[0:1], v[26:27], s[16:17], v[0:1]
	v_fma_f64 v[2:3], v[32:33], s[16:17], v[2:3]
	s_delay_alu instid0(VALU_DEP_4) | instskip(NEXT) | instid1(VALU_DEP_4)
	v_add_f64 v[56:57], v[62:63], v[60:61]
	v_add_f64 v[58:59], v[64:65], v[34:35]
	v_add_f64 v[60:61], v[62:63], -v[60:61]
	v_add_f64 v[62:63], v[64:65], -v[34:35]
	v_add_f64 v[64:65], v[0:1], v[16:17]
	v_add_f64 v[68:69], v[0:1], -v[16:17]
	v_fma_f64 v[0:1], v[4:5], s[14:15], v[38:39]
	v_add_f64 v[66:67], v[2:3], v[6:7]
	v_add_f64 v[70:71], v[2:3], -v[6:7]
	v_fma_f64 v[6:7], v[78:79], s[12:13], v[84:85]
	v_fma_f64 v[2:3], v[36:37], s[12:13], v[20:21]
	;; [unrolled: 1-line block ×4, first 2 shown]
	s_delay_alu instid0(VALU_DEP_4) | instskip(NEXT) | instid1(VALU_DEP_4)
	v_fma_f64 v[6:7], v[74:75], s[2:3], v[6:7]
	v_fma_f64 v[2:3], v[22:23], s[2:3], v[2:3]
	s_delay_alu instid0(VALU_DEP_4) | instskip(NEXT) | instid1(VALU_DEP_4)
	v_fma_f64 v[4:5], v[30:31], s[8:9], v[4:5]
	v_fma_f64 v[0:1], v[24:25], s[16:17], v[0:1]
	;; [unrolled: 3-line block ×3, first 2 shown]
	s_delay_alu instid0(VALU_DEP_4) | instskip(NEXT) | instid1(VALU_DEP_4)
	v_fma_f64 v[4:5], v[12:13], s[16:17], v[4:5]
	v_mul_f64 v[8:9], v[0:1], s[8:9]
	v_mul_f64 v[0:1], v[0:1], s[20:21]
	s_delay_alu instid0(VALU_DEP_2) | instskip(NEXT) | instid1(VALU_DEP_2)
	v_fma_f64 v[8:9], v[6:7], s[20:21], v[8:9]
	v_fma_f64 v[0:1], v[6:7], s[2:3], v[0:1]
	s_delay_alu instid0(VALU_DEP_2) | instskip(NEXT) | instid1(VALU_DEP_2)
	v_add_f64 v[72:73], v[2:3], v[8:9]
	v_add_f64 v[74:75], v[4:5], v[0:1]
	v_add_f64 v[76:77], v[2:3], -v[8:9]
	v_add_f64 v[78:79], v[4:5], -v[0:1]
	ds_load_b128 v[36:39], v124 offset:8000
	ds_load_b128 v[28:31], v124 offset:46400
	;; [unrolled: 1-line block ×20, first 2 shown]
	s_waitcnt lgkmcnt(0)
	s_barrier
	buffer_gl0_inv
	ds_store_b128 v248, v[52:55]
	ds_store_b128 v248, v[48:51] offset:80
	ds_store_b128 v248, v[40:43] offset:16
	;; [unrolled: 1-line block ×9, first 2 shown]
	v_add_f64 v[40:41], v[100:101], v[104:105]
	v_add_f64 v[42:43], v[102:103], v[106:107]
	;; [unrolled: 1-line block ×3, first 2 shown]
	v_add_f64 v[74:75], v[108:109], -v[112:113]
	v_add_f64 v[60:61], v[116:117], -v[112:113]
	;; [unrolled: 1-line block ×6, first 2 shown]
	v_add_f64 v[46:47], v[110:111], v[114:115]
	v_add_f64 v[50:51], v[106:107], -v[110:111]
	v_add_f64 v[58:59], v[110:111], -v[106:107]
	v_add_f64 v[76:77], v[106:107], -v[118:119]
	v_add_f64 v[52:53], v[104:105], v[116:117]
	v_add_f64 v[78:79], v[104:105], -v[116:117]
	v_add_f64 v[54:55], v[106:107], v[118:119]
	v_add_f64 v[64:65], v[118:119], -v[114:115]
	v_add_f64 v[66:67], v[114:115], -v[118:119]
	v_add_f64 v[104:105], v[88:89], v[92:93]
	v_add_f64 v[106:107], v[90:91], -v[94:95]
	v_add_f64 v[120:121], v[96:97], -v[92:93]
	v_add_f64 v[122:123], v[98:99], -v[94:95]
	v_add_f64 v[40:41], v[40:41], v[108:109]
	v_add_f64 v[42:43], v[42:43], v[110:111]
	v_add_f64 v[108:109], v[84:85], -v[88:89]
	v_add_f64 v[110:111], v[88:89], -v[84:85]
	v_fma_f64 v[125:126], v[44:45], -0.5, v[100:101]
	v_fma_f64 v[127:128], v[46:47], -0.5, v[102:103]
	;; [unrolled: 1-line block ×4, first 2 shown]
	v_add_f64 v[66:67], v[58:59], v[66:67]
	v_fma_f64 v[104:105], v[104:105], -0.5, v[80:81]
	v_add_f64 v[40:41], v[40:41], v[112:113]
	v_add_f64 v[42:43], v[42:43], v[114:115]
	v_add_f64 v[112:113], v[90:91], v[94:95]
	v_add_f64 v[114:115], v[86:87], -v[90:91]
	s_delay_alu instid0(VALU_DEP_4) | instskip(NEXT) | instid1(VALU_DEP_4)
	v_add_f64 v[68:69], v[40:41], v[116:117]
	v_add_f64 v[70:71], v[42:43], v[118:119]
	;; [unrolled: 1-line block ×4, first 2 shown]
	v_add_f64 v[116:117], v[86:87], -v[98:99]
	v_add_f64 v[118:119], v[84:85], v[96:97]
	v_add_f64 v[84:85], v[84:85], -v[96:97]
	v_fma_f64 v[112:113], v[112:113], -0.5, v[82:83]
	v_add_f64 v[40:41], v[40:41], v[88:89]
	v_add_f64 v[42:43], v[42:43], v[90:91]
	v_add_f64 v[90:91], v[90:91], -v[86:87]
	v_add_f64 v[86:87], v[86:87], v[98:99]
	v_add_f64 v[88:89], v[88:89], -v[92:93]
	v_fma_f64 v[80:81], v[118:119], -0.5, v[80:81]
	v_add_f64 v[40:41], v[40:41], v[92:93]
	v_add_f64 v[42:43], v[42:43], v[94:95]
	v_add_f64 v[92:93], v[92:93], -v[96:97]
	v_add_f64 v[94:95], v[94:95], -v[98:99]
	v_fma_f64 v[82:83], v[86:87], -0.5, v[82:83]
	v_add_f64 v[86:87], v[48:49], v[60:61]
	v_fma_f64 v[48:49], v[84:85], s[12:13], v[112:113]
	v_fma_f64 v[58:59], v[106:107], s[12:13], v[80:81]
	v_add_f64 v[96:97], v[40:41], v[96:97]
	v_add_f64 v[98:99], v[42:43], v[98:99]
	s_delay_alu instid0(VALU_DEP_4) | instskip(NEXT) | instid1(VALU_DEP_4)
	v_fma_f64 v[48:49], v[88:89], s[2:3], v[48:49]
	v_fma_f64 v[58:59], v[116:117], s[8:9], v[58:59]
	s_delay_alu instid0(VALU_DEP_4) | instskip(NEXT) | instid1(VALU_DEP_4)
	v_add_f64 v[40:41], v[68:69], v[96:97]
	v_add_f64 v[42:43], v[70:71], v[98:99]
	v_add_f64 v[44:45], v[68:69], -v[96:97]
	v_add_f64 v[46:47], v[70:71], -v[98:99]
	v_add_f64 v[96:97], v[50:51], v[64:65]
	v_add_f64 v[98:99], v[108:109], v[120:121]
	;; [unrolled: 1-line block ×3, first 2 shown]
	v_fma_f64 v[50:51], v[116:117], s[14:15], v[104:105]
	v_add_f64 v[70:71], v[90:91], v[94:95]
	v_add_f64 v[68:69], v[110:111], v[92:93]
	s_delay_alu instid0(VALU_DEP_4) | instskip(NEXT) | instid1(VALU_DEP_4)
	v_fma_f64 v[48:49], v[108:109], s[16:17], v[48:49]
	v_fma_f64 v[50:51], v[106:107], s[8:9], v[50:51]
	s_delay_alu instid0(VALU_DEP_3) | instskip(NEXT) | instid1(VALU_DEP_3)
	v_fma_f64 v[58:59], v[68:69], s[16:17], v[58:59]
	v_mul_f64 v[52:53], v[48:49], s[8:9]
	s_delay_alu instid0(VALU_DEP_3) | instskip(NEXT) | instid1(VALU_DEP_1)
	v_fma_f64 v[50:51], v[98:99], s[16:17], v[50:51]
	v_fma_f64 v[52:53], v[50:51], s[18:19], v[52:53]
	v_mul_f64 v[50:51], v[50:51], s[2:3]
	s_delay_alu instid0(VALU_DEP_1) | instskip(SKIP_2) | instid1(VALU_DEP_2)
	v_fma_f64 v[54:55], v[48:49], s[18:19], v[50:51]
	v_fma_f64 v[50:51], v[78:79], s[12:13], v[127:128]
	;; [unrolled: 1-line block ×4, first 2 shown]
	s_delay_alu instid0(VALU_DEP_2) | instskip(NEXT) | instid1(VALU_DEP_2)
	v_fma_f64 v[48:49], v[72:73], s[8:9], v[48:49]
	v_fma_f64 v[64:65], v[96:97], s[16:17], v[50:51]
	s_delay_alu instid0(VALU_DEP_2) | instskip(NEXT) | instid1(VALU_DEP_2)
	v_fma_f64 v[60:61], v[86:87], s[16:17], v[48:49]
	v_add_f64 v[50:51], v[64:65], v[54:55]
	v_add_f64 v[54:55], v[64:65], -v[54:55]
	v_add_f64 v[64:65], v[56:57], v[62:63]
	v_fma_f64 v[56:57], v[88:89], s[14:15], v[82:83]
	v_add_f64 v[48:49], v[60:61], v[52:53]
	v_add_f64 v[52:53], v[60:61], -v[52:53]
	s_delay_alu instid0(VALU_DEP_3) | instskip(NEXT) | instid1(VALU_DEP_1)
	v_fma_f64 v[56:57], v[84:85], s[2:3], v[56:57]
	v_fma_f64 v[56:57], v[70:71], s[16:17], v[56:57]
	s_delay_alu instid0(VALU_DEP_1) | instskip(SKIP_1) | instid1(VALU_DEP_2)
	v_mul_f64 v[60:61], v[56:57], s[14:15]
	v_mul_f64 v[56:57], v[56:57], s[16:17]
	v_fma_f64 v[60:61], v[58:59], s[16:17], v[60:61]
	s_delay_alu instid0(VALU_DEP_2) | instskip(SKIP_2) | instid1(VALU_DEP_2)
	v_fma_f64 v[62:63], v[58:59], s[12:13], v[56:57]
	v_fma_f64 v[56:57], v[72:73], s[12:13], v[100:101]
	;; [unrolled: 1-line block ×4, first 2 shown]
	s_delay_alu instid0(VALU_DEP_2) | instskip(NEXT) | instid1(VALU_DEP_2)
	v_fma_f64 v[58:59], v[78:79], s[2:3], v[58:59]
	v_fma_f64 v[90:91], v[64:65], s[16:17], v[56:57]
	s_delay_alu instid0(VALU_DEP_2) | instskip(NEXT) | instid1(VALU_DEP_2)
	v_fma_f64 v[92:93], v[66:67], s[16:17], v[58:59]
	v_add_f64 v[56:57], v[90:91], v[60:61]
	v_add_f64 v[60:61], v[90:91], -v[60:61]
	v_fma_f64 v[90:91], v[72:73], s[14:15], v[100:101]
	s_delay_alu instid0(VALU_DEP_4) | instskip(SKIP_1) | instid1(VALU_DEP_3)
	v_add_f64 v[58:59], v[92:93], v[62:63]
	v_add_f64 v[62:63], v[92:93], -v[62:63]
	v_fma_f64 v[90:91], v[76:77], s[2:3], v[90:91]
	v_fma_f64 v[76:77], v[76:77], s[12:13], v[125:126]
	s_delay_alu instid0(VALU_DEP_2) | instskip(SKIP_1) | instid1(VALU_DEP_3)
	v_fma_f64 v[90:91], v[64:65], s[16:17], v[90:91]
	v_fma_f64 v[64:65], v[74:75], s[12:13], v[102:103]
	;; [unrolled: 1-line block ×3, first 2 shown]
	s_delay_alu instid0(VALU_DEP_2) | instskip(SKIP_1) | instid1(VALU_DEP_2)
	v_fma_f64 v[64:65], v[78:79], s[8:9], v[64:65]
	v_fma_f64 v[78:79], v[78:79], s[14:15], v[127:128]
	;; [unrolled: 1-line block ×18, first 2 shown]
	v_mul_f64 v[68:69], v[64:65], s[14:15]
	v_mul_f64 v[64:65], v[64:65], s[22:23]
	;; [unrolled: 1-line block ×4, first 2 shown]
	s_delay_alu instid0(VALU_DEP_4) | instskip(NEXT) | instid1(VALU_DEP_4)
	v_fma_f64 v[68:69], v[66:67], s[22:23], v[68:69]
	v_fma_f64 v[70:71], v[66:67], s[12:13], v[64:65]
	s_delay_alu instid0(VALU_DEP_4) | instskip(NEXT) | instid1(VALU_DEP_4)
	v_fma_f64 v[78:79], v[72:73], s[20:21], v[74:75]
	v_fma_f64 v[84:85], v[72:73], s[2:3], v[76:77]
	s_delay_alu instid0(VALU_DEP_4) | instskip(NEXT) | instid1(VALU_DEP_4)
	v_add_f64 v[64:65], v[90:91], v[68:69]
	v_add_f64 v[66:67], v[92:93], v[70:71]
	s_delay_alu instid0(VALU_DEP_4) | instskip(NEXT) | instid1(VALU_DEP_4)
	v_add_f64 v[72:73], v[80:81], v[78:79]
	v_add_f64 v[74:75], v[82:83], v[84:85]
	v_add_f64 v[68:69], v[90:91], -v[68:69]
	v_add_f64 v[70:71], v[92:93], -v[70:71]
	;; [unrolled: 1-line block ×4, first 2 shown]
	ds_store_b128 v194, v[40:43]
	ds_store_b128 v194, v[48:51] offset:16
	ds_store_b128 v194, v[56:59] offset:32
	;; [unrolled: 1-line block ×9, first 2 shown]
	v_add_f64 v[40:41], v[32:33], v[4:5]
	v_add_f64 v[42:43], v[34:35], v[6:7]
	;; [unrolled: 1-line block ×3, first 2 shown]
	v_add_f64 v[48:49], v[4:5], -v[0:1]
	v_add_f64 v[50:51], v[0:1], -v[4:5]
	v_add_f64 v[54:55], v[0:1], -v[8:9]
	v_add_f64 v[62:63], v[4:5], -v[12:13]
	v_add_f64 v[46:47], v[2:3], -v[10:11]
	v_add_f64 v[52:53], v[2:3], v[10:11]
	v_add_f64 v[56:57], v[6:7], -v[2:3]
	v_add_f64 v[58:59], v[2:3], -v[6:7]
	;; [unrolled: 1-line block ×4, first 2 shown]
	v_add_f64 v[72:73], v[18:19], v[26:27]
	v_add_f64 v[66:67], v[18:19], -v[26:27]
	v_add_f64 v[68:69], v[20:21], -v[16:17]
	;; [unrolled: 1-line block ×5, first 2 shown]
	v_add_f64 v[78:79], v[20:21], v[28:29]
	v_add_f64 v[80:81], v[20:21], -v[28:29]
	v_add_f64 v[82:83], v[30:31], -v[26:27]
	v_add_f64 v[40:41], v[40:41], v[0:1]
	v_add_f64 v[42:43], v[42:43], v[2:3]
	;; [unrolled: 1-line block ×4, first 2 shown]
	v_fma_f64 v[44:45], v[44:45], -0.5, v[32:33]
	v_add_f64 v[4:5], v[40:41], v[8:9]
	v_add_f64 v[6:7], v[42:43], v[10:11]
	v_add_f64 v[40:41], v[12:13], -v[8:9]
	v_add_f64 v[42:43], v[8:9], -v[12:13]
	;; [unrolled: 1-line block ×3, first 2 shown]
	v_add_f64 v[10:11], v[36:37], v[20:21]
	v_add_f64 v[20:21], v[22:23], v[30:31]
	;; [unrolled: 1-line block ×8, first 2 shown]
	v_add_f64 v[16:17], v[22:23], -v[18:19]
	v_add_f64 v[48:49], v[56:57], v[8:9]
	v_add_f64 v[42:43], v[50:51], v[42:43]
	;; [unrolled: 1-line block ×4, first 2 shown]
	v_add_f64 v[18:19], v[18:19], -v[22:23]
	v_add_f64 v[22:23], v[28:29], -v[24:25]
	v_add_f64 v[10:11], v[10:11], v[24:25]
	v_add_f64 v[24:25], v[24:25], -v[28:29]
	v_add_f64 v[12:13], v[12:13], v[26:27]
	;; [unrolled: 2-line block ×3, first 2 shown]
	v_add_f64 v[68:69], v[16:17], v[82:83]
	v_add_f64 v[10:11], v[10:11], v[28:29]
	v_fma_f64 v[28:29], v[0:1], -0.5, v[32:33]
	v_fma_f64 v[32:33], v[52:53], -0.5, v[34:35]
	;; [unrolled: 1-line block ×4, first 2 shown]
	v_add_f64 v[24:25], v[70:71], v[24:25]
	v_add_f64 v[12:13], v[12:13], v[30:31]
	v_fma_f64 v[30:31], v[2:3], -0.5, v[34:35]
	v_fma_f64 v[34:35], v[72:73], -0.5, v[38:39]
	;; [unrolled: 1-line block ×3, first 2 shown]
	v_add_f64 v[0:1], v[4:5], v[10:11]
	v_add_f64 v[4:5], v[4:5], -v[10:11]
	v_add_f64 v[26:27], v[18:19], v[26:27]
	v_fma_f64 v[10:11], v[76:77], s[14:15], v[52:53]
	v_fma_f64 v[18:19], v[66:67], s[12:13], v[36:37]
	v_fma_f64 v[36:37], v[66:67], s[14:15], v[36:37]
	v_add_f64 v[2:3], v[6:7], v[12:13]
	v_add_f64 v[6:7], v[6:7], -v[12:13]
	v_fma_f64 v[8:9], v[80:81], s[12:13], v[34:35]
	v_fma_f64 v[34:35], v[80:81], s[14:15], v[34:35]
	;; [unrolled: 1-line block ×12, first 2 shown]
	s_delay_alu instid0(VALU_DEP_2) | instskip(NEXT) | instid1(VALU_DEP_1)
	v_mul_f64 v[12:13], v[8:9], s[8:9]
	v_fma_f64 v[12:13], v[10:11], s[18:19], v[12:13]
	v_mul_f64 v[10:11], v[10:11], s[2:3]
	s_delay_alu instid0(VALU_DEP_1) | instskip(SKIP_3) | instid1(VALU_DEP_3)
	v_fma_f64 v[14:15], v[8:9], s[18:19], v[10:11]
	v_fma_f64 v[8:9], v[60:61], s[14:15], v[44:45]
	;; [unrolled: 1-line block ×5, first 2 shown]
	s_delay_alu instid0(VALU_DEP_3) | instskip(NEXT) | instid1(VALU_DEP_3)
	v_fma_f64 v[10:11], v[54:55], s[2:3], v[10:11]
	v_fma_f64 v[32:33], v[54:55], s[8:9], v[32:33]
	s_delay_alu instid0(VALU_DEP_3) | instskip(NEXT) | instid1(VALU_DEP_3)
	v_fma_f64 v[16:17], v[40:41], s[16:17], v[8:9]
	v_fma_f64 v[20:21], v[48:49], s[16:17], v[10:11]
	s_delay_alu instid0(VALU_DEP_2)
	v_add_f64 v[8:9], v[16:17], v[12:13]
	v_add_f64 v[12:13], v[16:17], -v[12:13]
	v_fma_f64 v[16:17], v[74:75], s[14:15], v[38:39]
	v_fma_f64 v[38:39], v[74:75], s[12:13], v[38:39]
	v_add_f64 v[10:11], v[20:21], v[14:15]
	v_add_f64 v[14:15], v[20:21], -v[14:15]
	s_delay_alu instid0(VALU_DEP_4) | instskip(NEXT) | instid1(VALU_DEP_4)
	v_fma_f64 v[16:17], v[80:81], s[2:3], v[16:17]
	v_fma_f64 v[38:39], v[80:81], s[8:9], v[38:39]
	s_delay_alu instid0(VALU_DEP_2) | instskip(NEXT) | instid1(VALU_DEP_2)
	v_fma_f64 v[16:17], v[26:27], s[16:17], v[16:17]
	v_fma_f64 v[26:27], v[26:27], s[16:17], v[38:39]
	s_delay_alu instid0(VALU_DEP_2) | instskip(SKIP_1) | instid1(VALU_DEP_3)
	v_mul_f64 v[20:21], v[16:17], s[14:15]
	v_mul_f64 v[16:17], v[16:17], s[16:17]
	;; [unrolled: 1-line block ×4, first 2 shown]
	s_delay_alu instid0(VALU_DEP_4) | instskip(NEXT) | instid1(VALU_DEP_4)
	v_fma_f64 v[20:21], v[18:19], s[16:17], v[20:21]
	v_fma_f64 v[22:23], v[18:19], s[12:13], v[16:17]
	v_fma_f64 v[16:17], v[46:47], s[12:13], v[28:29]
	v_fma_f64 v[18:19], v[54:55], s[14:15], v[30:31]
	v_fma_f64 v[28:29], v[46:47], s[14:15], v[28:29]
	v_fma_f64 v[30:31], v[54:55], s[12:13], v[30:31]
	v_fma_f64 v[36:37], v[24:25], s[22:23], v[36:37]
	v_fma_f64 v[38:39], v[24:25], s[12:13], v[26:27]
	v_fma_f64 v[16:17], v[60:61], s[8:9], v[16:17]
	v_fma_f64 v[18:19], v[62:63], s[2:3], v[18:19]
	v_fma_f64 v[28:29], v[60:61], s[2:3], v[28:29]
	v_fma_f64 v[30:31], v[62:63], s[8:9], v[30:31]
	s_delay_alu instid0(VALU_DEP_4) | instskip(NEXT) | instid1(VALU_DEP_4)
	v_fma_f64 v[58:59], v[42:43], s[16:17], v[16:17]
	v_fma_f64 v[64:65], v[50:51], s[16:17], v[18:19]
	s_delay_alu instid0(VALU_DEP_4) | instskip(NEXT) | instid1(VALU_DEP_4)
	v_fma_f64 v[28:29], v[42:43], s[16:17], v[28:29]
	v_fma_f64 v[30:31], v[50:51], s[16:17], v[30:31]
	s_delay_alu instid0(VALU_DEP_4) | instskip(NEXT) | instid1(VALU_DEP_4)
	v_add_f64 v[16:17], v[58:59], v[20:21]
	v_add_f64 v[18:19], v[64:65], v[22:23]
	s_delay_alu instid0(VALU_DEP_4) | instskip(NEXT) | instid1(VALU_DEP_4)
	v_add_f64 v[24:25], v[28:29], v[36:37]
	v_add_f64 v[26:27], v[30:31], v[38:39]
	v_add_f64 v[28:29], v[28:29], -v[36:37]
	v_add_f64 v[30:31], v[30:31], -v[38:39]
	v_fma_f64 v[36:37], v[60:61], s[12:13], v[44:45]
	v_fma_f64 v[38:39], v[76:77], s[12:13], v[52:53]
	v_add_f64 v[20:21], v[58:59], -v[20:21]
	v_add_f64 v[22:23], v[64:65], -v[22:23]
	s_delay_alu instid0(VALU_DEP_4) | instskip(NEXT) | instid1(VALU_DEP_4)
	v_fma_f64 v[36:37], v[46:47], s[2:3], v[36:37]
	v_fma_f64 v[38:39], v[66:67], s[2:3], v[38:39]
	s_delay_alu instid0(VALU_DEP_2) | instskip(SKIP_1) | instid1(VALU_DEP_3)
	v_fma_f64 v[36:37], v[40:41], s[16:17], v[36:37]
	v_fma_f64 v[40:41], v[48:49], s[16:17], v[32:33]
	;; [unrolled: 1-line block ×3, first 2 shown]
	v_mul_f64 v[38:39], v[34:35], s[8:9]
	v_mul_f64 v[34:35], v[34:35], s[20:21]
	s_delay_alu instid0(VALU_DEP_2) | instskip(NEXT) | instid1(VALU_DEP_2)
	v_fma_f64 v[38:39], v[32:33], s[20:21], v[38:39]
	v_fma_f64 v[42:43], v[32:33], s[2:3], v[34:35]
	s_delay_alu instid0(VALU_DEP_2) | instskip(NEXT) | instid1(VALU_DEP_2)
	v_add_f64 v[32:33], v[36:37], v[38:39]
	v_add_f64 v[34:35], v[40:41], v[42:43]
	v_add_f64 v[36:37], v[36:37], -v[38:39]
	v_add_f64 v[38:39], v[40:41], -v[42:43]
	ds_store_b128 v249, v[0:3]
	ds_store_b128 v249, v[8:11] offset:16
	ds_store_b128 v249, v[16:19] offset:32
	;; [unrolled: 1-line block ×9, first 2 shown]
	s_waitcnt lgkmcnt(0)
	s_barrier
	buffer_gl0_inv
	s_clause 0x1
	scratch_load_b128 v[6:9], off, off offset:488
	scratch_load_b128 v[10:13], off, off offset:744
	ds_load_b128 v[0:3], v124 offset:16000
	s_clause 0x1
	scratch_load_b128 v[14:17], off, off offset:760
	scratch_load_b128 v[28:31], off, off offset:792
	s_waitcnt vmcnt(3) lgkmcnt(0)
	v_mul_f64 v[4:5], v[8:9], v[2:3]
	s_delay_alu instid0(VALU_DEP_1) | instskip(SKIP_1) | instid1(VALU_DEP_1)
	v_fma_f64 v[20:21], v[6:7], v[0:1], v[4:5]
	v_mul_f64 v[0:1], v[8:9], v[0:1]
	v_fma_f64 v[22:23], v[6:7], v[2:3], -v[0:1]
	scratch_load_b128 v[6:9], off, off offset:504 ; 16-byte Folded Reload
	ds_load_b128 v[0:3], v124 offset:32000
	s_waitcnt vmcnt(0) lgkmcnt(0)
	v_mul_f64 v[4:5], v[8:9], v[2:3]
	s_delay_alu instid0(VALU_DEP_1) | instskip(SKIP_1) | instid1(VALU_DEP_1)
	v_fma_f64 v[24:25], v[6:7], v[0:1], v[4:5]
	v_mul_f64 v[0:1], v[8:9], v[0:1]
	v_fma_f64 v[26:27], v[6:7], v[2:3], -v[0:1]
	scratch_load_b128 v[6:9], off, off offset:520 ; 16-byte Folded Reload
	ds_load_b128 v[0:3], v124 offset:17600
	;; [unrolled: 8-line block ×15, first 2 shown]
	s_waitcnt vmcnt(0) lgkmcnt(0)
	v_mul_f64 v[4:5], v[8:9], v[2:3]
	s_delay_alu instid0(VALU_DEP_1) | instskip(SKIP_1) | instid1(VALU_DEP_1)
	v_fma_f64 v[116:117], v[6:7], v[0:1], v[4:5]
	v_mul_f64 v[0:1], v[8:9], v[0:1]
	v_fma_f64 v[118:119], v[6:7], v[2:3], -v[0:1]
	ds_load_b128 v[0:3], v124 offset:28800
	s_waitcnt lgkmcnt(0)
	v_mul_f64 v[4:5], v[12:13], v[2:3]
	s_delay_alu instid0(VALU_DEP_1) | instskip(SKIP_1) | instid1(VALU_DEP_1)
	v_fma_f64 v[8:9], v[10:11], v[0:1], v[4:5]
	v_mul_f64 v[0:1], v[12:13], v[0:1]
	v_fma_f64 v[10:11], v[10:11], v[2:3], -v[0:1]
	ds_load_b128 v[0:3], v124 offset:44800
	s_waitcnt lgkmcnt(0)
	v_mul_f64 v[4:5], v[16:17], v[2:3]
	s_delay_alu instid0(VALU_DEP_1)
	v_fma_f64 v[12:13], v[14:15], v[0:1], v[4:5]
	v_mul_f64 v[0:1], v[16:17], v[0:1]
	scratch_load_b128 v[16:19], off, off offset:776 ; 16-byte Folded Reload
	v_fma_f64 v[14:15], v[14:15], v[2:3], -v[0:1]
	ds_load_b128 v[2:5], v124 offset:30400
	s_waitcnt vmcnt(0) lgkmcnt(0)
	v_mul_f64 v[0:1], v[18:19], v[4:5]
	s_delay_alu instid0(VALU_DEP_1) | instskip(SKIP_1) | instid1(VALU_DEP_1)
	v_fma_f64 v[0:1], v[16:17], v[2:3], v[0:1]
	v_mul_f64 v[2:3], v[18:19], v[2:3]
	v_fma_f64 v[2:3], v[16:17], v[4:5], -v[2:3]
	ds_load_b128 v[16:19], v124 offset:46400
	s_waitcnt lgkmcnt(0)
	v_mul_f64 v[4:5], v[30:31], v[18:19]
	v_mul_f64 v[6:7], v[30:31], v[16:17]
	v_add_f64 v[30:31], v[22:23], v[26:27]
	s_delay_alu instid0(VALU_DEP_3) | instskip(NEXT) | instid1(VALU_DEP_3)
	v_fma_f64 v[4:5], v[28:29], v[16:17], v[4:5]
	v_fma_f64 v[6:7], v[28:29], v[18:19], -v[6:7]
	ds_load_b128 v[16:19], v124
	v_add_f64 v[28:29], v[20:21], v[24:25]
	s_waitcnt lgkmcnt(0)
	v_fma_f64 v[30:31], v[30:31], -0.5, v[18:19]
	v_add_f64 v[18:19], v[18:19], v[22:23]
	v_add_f64 v[22:23], v[22:23], -v[26:27]
	s_delay_alu instid0(VALU_DEP_4) | instskip(SKIP_1) | instid1(VALU_DEP_4)
	v_fma_f64 v[28:29], v[28:29], -0.5, v[16:17]
	v_add_f64 v[16:17], v[16:17], v[20:21]
	v_add_f64 v[18:19], v[18:19], v[26:27]
	v_add_f64 v[26:27], v[20:21], -v[24:25]
	s_delay_alu instid0(VALU_DEP_4) | instskip(NEXT) | instid1(VALU_DEP_4)
	v_fma_f64 v[20:21], v[22:23], s[26:27], v[28:29]
	v_add_f64 v[16:17], v[16:17], v[24:25]
	v_fma_f64 v[24:25], v[22:23], s[24:25], v[28:29]
	s_delay_alu instid0(VALU_DEP_4)
	v_fma_f64 v[22:23], v[26:27], s[24:25], v[30:31]
	v_fma_f64 v[26:27], v[26:27], s[26:27], v[30:31]
	ds_load_b128 v[28:31], v124 offset:14400
	ds_load_b128 v[32:35], v124 offset:1600
	;; [unrolled: 1-line block ×9, first 2 shown]
	s_waitcnt lgkmcnt(0)
	s_barrier
	buffer_gl0_inv
	scratch_load_b32 v120, off, off offset:900 ; 4-byte Folded Reload
	s_waitcnt vmcnt(0)
	ds_store_b128 v120, v[16:19]
	ds_store_b128 v120, v[20:23] offset:160
	ds_store_b128 v120, v[24:27] offset:320
	v_add_f64 v[16:17], v[64:65], v[68:69]
	v_add_f64 v[20:21], v[32:33], v[64:65]
	v_add_f64 v[24:25], v[66:67], -v[70:71]
	s_delay_alu instid0(VALU_DEP_3) | instskip(SKIP_2) | instid1(VALU_DEP_2)
	v_fma_f64 v[22:23], v[16:17], -0.5, v[32:33]
	v_add_f64 v[16:17], v[66:67], v[70:71]
	v_add_f64 v[32:33], v[64:65], -v[68:69]
	v_fma_f64 v[26:27], v[16:17], -0.5, v[34:35]
	v_add_f64 v[16:17], v[34:35], v[66:67]
	s_delay_alu instid0(VALU_DEP_1)
	v_add_f64 v[18:19], v[16:17], v[70:71]
	v_add_f64 v[16:17], v[20:21], v[68:69]
	v_fma_f64 v[20:21], v[24:25], s[26:27], v[22:23]
	v_fma_f64 v[24:25], v[24:25], s[24:25], v[22:23]
	v_fma_f64 v[22:23], v[32:33], s[24:25], v[26:27]
	v_fma_f64 v[26:27], v[32:33], s[26:27], v[26:27]
	scratch_load_b32 v32, off, off offset:896 ; 4-byte Folded Reload
	s_waitcnt vmcnt(0)
	ds_store_b128 v32, v[16:19]
	ds_store_b128 v32, v[20:23] offset:160
	ds_store_b128 v32, v[24:27] offset:320
	v_add_f64 v[16:17], v[72:73], v[76:77]
	v_add_f64 v[20:21], v[36:37], v[72:73]
	v_add_f64 v[24:25], v[74:75], -v[78:79]
	v_add_f64 v[32:33], v[72:73], -v[76:77]
	s_delay_alu instid0(VALU_DEP_4) | instskip(SKIP_1) | instid1(VALU_DEP_1)
	v_fma_f64 v[22:23], v[16:17], -0.5, v[36:37]
	v_add_f64 v[16:17], v[74:75], v[78:79]
	v_fma_f64 v[26:27], v[16:17], -0.5, v[38:39]
	v_add_f64 v[16:17], v[38:39], v[74:75]
	s_delay_alu instid0(VALU_DEP_1)
	v_add_f64 v[18:19], v[16:17], v[78:79]
	v_add_f64 v[16:17], v[20:21], v[76:77]
	v_fma_f64 v[20:21], v[24:25], s[26:27], v[22:23]
	v_fma_f64 v[24:25], v[24:25], s[24:25], v[22:23]
	v_fma_f64 v[22:23], v[32:33], s[24:25], v[26:27]
	v_fma_f64 v[26:27], v[32:33], s[26:27], v[26:27]
	scratch_load_b32 v32, off, off offset:892 ; 4-byte Folded Reload
	s_waitcnt vmcnt(0)
	ds_store_b128 v32, v[16:19]
	ds_store_b128 v32, v[20:23] offset:160
	ds_store_b128 v32, v[24:27] offset:320
	v_add_f64 v[16:17], v[80:81], v[84:85]
	v_add_f64 v[20:21], v[40:41], v[80:81]
	v_add_f64 v[24:25], v[82:83], -v[86:87]
	v_add_f64 v[32:33], v[80:81], -v[84:85]
	s_delay_alu instid0(VALU_DEP_4) | instskip(SKIP_1) | instid1(VALU_DEP_1)
	v_fma_f64 v[22:23], v[16:17], -0.5, v[40:41]
	v_add_f64 v[16:17], v[82:83], v[86:87]
	;; [unrolled: 21-line block ×6, first 2 shown]
	v_fma_f64 v[26:27], v[16:17], -0.5, v[58:59]
	v_add_f64 v[16:17], v[58:59], v[114:115]
	s_delay_alu instid0(VALU_DEP_1)
	v_add_f64 v[18:19], v[16:17], v[118:119]
	v_add_f64 v[16:17], v[20:21], v[116:117]
	v_fma_f64 v[20:21], v[24:25], s[26:27], v[22:23]
	v_fma_f64 v[24:25], v[24:25], s[24:25], v[22:23]
	;; [unrolled: 1-line block ×4, first 2 shown]
	scratch_load_b32 v32, off, off offset:808 ; 4-byte Folded Reload
	s_waitcnt vmcnt(0)
	ds_store_b128 v32, v[16:19]
	ds_store_b128 v32, v[20:23] offset:160
	ds_store_b128 v32, v[24:27] offset:320
	v_add_f64 v[16:17], v[8:9], v[12:13]
	v_add_f64 v[22:23], v[60:61], v[8:9]
	s_delay_alu instid0(VALU_DEP_2) | instskip(SKIP_1) | instid1(VALU_DEP_1)
	v_fma_f64 v[18:19], v[16:17], -0.5, v[60:61]
	v_add_f64 v[16:17], v[10:11], v[14:15]
	v_fma_f64 v[20:21], v[16:17], -0.5, v[62:63]
	v_add_f64 v[16:17], v[62:63], v[10:11]
	v_add_f64 v[10:11], v[10:11], -v[14:15]
	s_delay_alu instid0(VALU_DEP_2) | instskip(SKIP_2) | instid1(VALU_DEP_4)
	v_add_f64 v[16:17], v[16:17], v[14:15]
	v_add_f64 v[14:15], v[22:23], v[12:13]
	v_add_f64 v[12:13], v[8:9], -v[12:13]
	v_fma_f64 v[8:9], v[10:11], s[26:27], v[18:19]
	v_fma_f64 v[18:19], v[10:11], s[24:25], v[18:19]
	s_delay_alu instid0(VALU_DEP_3)
	v_fma_f64 v[10:11], v[12:13], s[24:25], v[20:21]
	v_fma_f64 v[20:21], v[12:13], s[26:27], v[20:21]
	scratch_load_b32 v12, off, off offset:1224 ; 4-byte Folded Reload
	s_waitcnt vmcnt(0)
	ds_store_b128 v12, v[14:17]
	ds_store_b128 v12, v[8:11] offset:160
	ds_store_b128 v12, v[18:21] offset:320
	v_add_f64 v[8:9], v[0:1], v[4:5]
	v_add_f64 v[14:15], v[28:29], v[0:1]
	s_delay_alu instid0(VALU_DEP_2) | instskip(SKIP_1) | instid1(VALU_DEP_1)
	v_fma_f64 v[10:11], v[8:9], -0.5, v[28:29]
	v_add_f64 v[8:9], v[2:3], v[6:7]
	v_fma_f64 v[12:13], v[8:9], -0.5, v[30:31]
	v_add_f64 v[8:9], v[30:31], v[2:3]
	v_add_f64 v[2:3], v[2:3], -v[6:7]
	s_delay_alu instid0(VALU_DEP_2) | instskip(SKIP_2) | instid1(VALU_DEP_4)
	v_add_f64 v[8:9], v[8:9], v[6:7]
	v_add_f64 v[6:7], v[14:15], v[4:5]
	v_add_f64 v[4:5], v[0:1], -v[4:5]
	v_fma_f64 v[0:1], v[2:3], s[26:27], v[10:11]
	v_fma_f64 v[10:11], v[2:3], s[24:25], v[10:11]
	s_delay_alu instid0(VALU_DEP_3)
	v_fma_f64 v[2:3], v[4:5], s[24:25], v[12:13]
	v_fma_f64 v[12:13], v[4:5], s[26:27], v[12:13]
	ds_store_b128 v221, v[6:9]
	ds_store_b128 v221, v[0:3] offset:160
	ds_store_b128 v221, v[10:13] offset:320
	s_waitcnt lgkmcnt(0)
	s_barrier
	buffer_gl0_inv
	scratch_load_b128 v[6:9], off, off offset:824 ; 16-byte Folded Reload
	ds_load_b128 v[0:3], v124 offset:4800
	s_waitcnt vmcnt(0) lgkmcnt(0)
	v_mul_f64 v[4:5], v[8:9], v[2:3]
	s_delay_alu instid0(VALU_DEP_1) | instskip(SKIP_1) | instid1(VALU_DEP_1)
	v_fma_f64 v[92:93], v[6:7], v[0:1], v[4:5]
	v_mul_f64 v[0:1], v[8:9], v[0:1]
	v_fma_f64 v[94:95], v[6:7], v[2:3], -v[0:1]
	scratch_load_b128 v[6:9], off, off offset:840 ; 16-byte Folded Reload
	ds_load_b128 v[0:3], v124 offset:9600
	s_waitcnt vmcnt(0) lgkmcnt(0)
	v_mul_f64 v[4:5], v[8:9], v[2:3]
	s_delay_alu instid0(VALU_DEP_1) | instskip(SKIP_1) | instid1(VALU_DEP_1)
	v_fma_f64 v[96:97], v[6:7], v[0:1], v[4:5]
	v_mul_f64 v[0:1], v[8:9], v[0:1]
	v_fma_f64 v[98:99], v[6:7], v[2:3], -v[0:1]
	scratch_load_b128 v[6:9], off, off offset:856 ; 16-byte Folded Reload
	ds_load_b128 v[0:3], v124 offset:14400
	s_waitcnt vmcnt(0) lgkmcnt(0)
	v_mul_f64 v[4:5], v[8:9], v[2:3]
	s_delay_alu instid0(VALU_DEP_1) | instskip(SKIP_1) | instid1(VALU_DEP_1)
	v_fma_f64 v[100:101], v[6:7], v[0:1], v[4:5]
	v_mul_f64 v[0:1], v[8:9], v[0:1]
	v_fma_f64 v[102:103], v[6:7], v[2:3], -v[0:1]
	scratch_load_b128 v[6:9], off, off offset:876 ; 16-byte Folded Reload
	ds_load_b128 v[0:3], v124 offset:19200
	s_waitcnt vmcnt(0) lgkmcnt(0)
	v_mul_f64 v[4:5], v[8:9], v[2:3]
	s_delay_alu instid0(VALU_DEP_1) | instskip(SKIP_1) | instid1(VALU_DEP_1)
	v_fma_f64 v[104:105], v[6:7], v[0:1], v[4:5]
	v_mul_f64 v[0:1], v[8:9], v[0:1]
	v_fma_f64 v[106:107], v[6:7], v[2:3], -v[0:1]
	scratch_load_b128 v[6:9], off, off offset:904 ; 16-byte Folded Reload
	ds_load_b128 v[0:3], v124 offset:24000
	s_waitcnt vmcnt(0) lgkmcnt(0)
	v_mul_f64 v[4:5], v[8:9], v[2:3]
	s_delay_alu instid0(VALU_DEP_1) | instskip(SKIP_1) | instid1(VALU_DEP_1)
	v_fma_f64 v[108:109], v[6:7], v[0:1], v[4:5]
	v_mul_f64 v[0:1], v[8:9], v[0:1]
	v_fma_f64 v[110:111], v[6:7], v[2:3], -v[0:1]
	scratch_load_b128 v[6:9], off, off offset:920 ; 16-byte Folded Reload
	ds_load_b128 v[0:3], v124 offset:28800
	s_waitcnt vmcnt(0) lgkmcnt(0)
	v_mul_f64 v[4:5], v[8:9], v[2:3]
	s_delay_alu instid0(VALU_DEP_1) | instskip(SKIP_1) | instid1(VALU_DEP_2)
	v_fma_f64 v[112:113], v[6:7], v[0:1], v[4:5]
	v_mul_f64 v[0:1], v[8:9], v[0:1]
	v_add_f64 v[161:162], v[104:105], -v[112:113]
	s_delay_alu instid0(VALU_DEP_2)
	v_fma_f64 v[114:115], v[6:7], v[2:3], -v[0:1]
	scratch_load_b128 v[6:9], off, off offset:936 ; 16-byte Folded Reload
	ds_load_b128 v[0:3], v124 offset:33600
	v_add_f64 v[157:158], v[106:107], -v[114:115]
	s_waitcnt vmcnt(0) lgkmcnt(0)
	v_mul_f64 v[4:5], v[8:9], v[2:3]
	s_delay_alu instid0(VALU_DEP_1) | instskip(SKIP_1) | instid1(VALU_DEP_2)
	v_fma_f64 v[116:117], v[6:7], v[0:1], v[4:5]
	v_mul_f64 v[0:1], v[8:9], v[0:1]
	v_add_f64 v[147:148], v[108:109], -v[116:117]
	s_delay_alu instid0(VALU_DEP_2)
	v_fma_f64 v[118:119], v[6:7], v[2:3], -v[0:1]
	scratch_load_b128 v[6:9], off, off offset:952 ; 16-byte Folded Reload
	ds_load_b128 v[0:3], v124 offset:38400
	v_add_f64 v[151:152], v[110:111], -v[118:119]
	;; [unrolled: 11-line block ×3, first 2 shown]
	v_add_f64 v[155:156], v[98:99], -v[122:123]
	s_waitcnt vmcnt(0) lgkmcnt(0)
	v_mul_f64 v[4:5], v[8:9], v[2:3]
	s_delay_alu instid0(VALU_DEP_1) | instskip(SKIP_1) | instid1(VALU_DEP_2)
	v_fma_f64 v[125:126], v[6:7], v[0:1], v[4:5]
	v_mul_f64 v[0:1], v[8:9], v[0:1]
	v_add_f64 v[14:15], v[125:126], -v[116:117]
	s_delay_alu instid0(VALU_DEP_2)
	v_fma_f64 v[127:128], v[6:7], v[2:3], -v[0:1]
	scratch_load_b128 v[6:9], off, off offset:984 ; 16-byte Folded Reload
	ds_load_b128 v[0:3], v124 offset:6400
	v_add_f64 v[145:146], v[100:101], -v[125:126]
	v_add_f64 v[149:150], v[102:103], -v[127:128]
	s_waitcnt vmcnt(0) lgkmcnt(0)
	v_mul_f64 v[4:5], v[8:9], v[2:3]
	s_delay_alu instid0(VALU_DEP_1) | instskip(SKIP_1) | instid1(VALU_DEP_1)
	v_fma_f64 v[52:53], v[6:7], v[0:1], v[4:5]
	v_mul_f64 v[0:1], v[8:9], v[0:1]
	v_fma_f64 v[54:55], v[6:7], v[2:3], -v[0:1]
	scratch_load_b128 v[6:9], off, off offset:1000 ; 16-byte Folded Reload
	ds_load_b128 v[0:3], v124 offset:11200
	s_waitcnt vmcnt(0) lgkmcnt(0)
	v_mul_f64 v[4:5], v[8:9], v[2:3]
	s_delay_alu instid0(VALU_DEP_1) | instskip(SKIP_1) | instid1(VALU_DEP_1)
	v_fma_f64 v[58:59], v[6:7], v[0:1], v[4:5]
	v_mul_f64 v[0:1], v[8:9], v[0:1]
	v_fma_f64 v[60:61], v[6:7], v[2:3], -v[0:1]
	scratch_load_b128 v[6:9], off, off offset:1016 ; 16-byte Folded Reload
	ds_load_b128 v[0:3], v124 offset:16000
	;; [unrolled: 8-line block ×17, first 2 shown]
	s_waitcnt vmcnt(0) lgkmcnt(0)
	v_mul_f64 v[4:5], v[8:9], v[2:3]
	s_delay_alu instid0(VALU_DEP_1) | instskip(SKIP_2) | instid1(VALU_DEP_2)
	v_fma_f64 v[50:51], v[6:7], v[0:1], v[4:5]
	v_mul_f64 v[0:1], v[8:9], v[0:1]
	v_add_f64 v[4:5], v[104:105], v[112:113]
	v_fma_f64 v[44:45], v[6:7], v[2:3], -v[0:1]
	ds_load_b128 v[0:3], v124
	v_add_f64 v[6:7], v[94:95], v[102:103]
	s_waitcnt lgkmcnt(0)
	v_fma_f64 v[129:130], v[4:5], -0.5, v[0:1]
	v_add_f64 v[4:5], v[96:97], v[120:121]
	s_delay_alu instid0(VALU_DEP_3) | instskip(NEXT) | instid1(VALU_DEP_2)
	v_add_f64 v[6:7], v[6:7], v[110:111]
	v_fma_f64 v[131:132], v[4:5], -0.5, v[0:1]
	v_add_f64 v[4:5], v[106:107], v[114:115]
	v_add_f64 v[0:1], v[0:1], v[96:97]
	s_delay_alu instid0(VALU_DEP_4) | instskip(NEXT) | instid1(VALU_DEP_3)
	v_add_f64 v[6:7], v[6:7], v[118:119]
	v_fma_f64 v[133:134], v[4:5], -0.5, v[2:3]
	v_add_f64 v[4:5], v[98:99], v[122:123]
	s_delay_alu instid0(VALU_DEP_4) | instskip(NEXT) | instid1(VALU_DEP_4)
	v_add_f64 v[0:1], v[0:1], v[104:105]
	v_add_f64 v[10:11], v[6:7], v[127:128]
	s_delay_alu instid0(VALU_DEP_3) | instskip(SKIP_3) | instid1(VALU_DEP_3)
	v_fma_f64 v[135:136], v[4:5], -0.5, v[2:3]
	v_add_f64 v[2:3], v[2:3], v[98:99]
	v_add_f64 v[4:5], v[92:93], v[100:101]
	;; [unrolled: 1-line block ×4, first 2 shown]
	s_delay_alu instid0(VALU_DEP_3) | instskip(NEXT) | instid1(VALU_DEP_3)
	v_add_f64 v[4:5], v[4:5], v[108:109]
	v_add_f64 v[0:1], v[0:1], v[120:121]
	s_delay_alu instid0(VALU_DEP_3) | instskip(NEXT) | instid1(VALU_DEP_3)
	v_add_f64 v[2:3], v[2:3], v[114:115]
	v_add_f64 v[4:5], v[4:5], v[116:117]
	s_delay_alu instid0(VALU_DEP_2) | instskip(NEXT) | instid1(VALU_DEP_2)
	v_add_f64 v[2:3], v[2:3], v[122:123]
	v_add_f64 v[8:9], v[4:5], v[125:126]
	s_delay_alu instid0(VALU_DEP_2) | instskip(NEXT) | instid1(VALU_DEP_2)
	v_add_f64 v[6:7], v[2:3], v[10:11]
	v_add_f64 v[4:5], v[0:1], v[8:9]
	v_add_f64 v[8:9], v[0:1], -v[8:9]
	v_add_f64 v[10:11], v[2:3], -v[10:11]
	v_add_f64 v[0:1], v[96:97], -v[104:105]
	v_add_f64 v[2:3], v[120:121], -v[112:113]
	v_add_f64 v[96:97], v[104:105], -v[96:97]
	v_add_f64 v[104:105], v[112:113], -v[120:121]
	v_add_f64 v[112:113], v[116:117], -v[125:126]
	v_add_f64 v[120:121], v[60:61], -v[84:85]
	v_add_f64 v[0:1], v[0:1], v[2:3]
	v_add_f64 v[2:3], v[98:99], -v[106:107]
	v_add_f64 v[98:99], v[106:107], -v[98:99]
	;; [unrolled: 1-line block ×4, first 2 shown]
	v_add_f64 v[104:105], v[96:97], v[104:105]
	v_add_f64 v[122:123], v[66:67], -v[76:77]
	v_add_f64 v[2:3], v[2:3], v[12:13]
	v_add_f64 v[12:13], v[100:101], -v[108:109]
	v_add_f64 v[106:107], v[98:99], v[106:107]
	s_delay_alu instid0(VALU_DEP_2) | instskip(SKIP_2) | instid1(VALU_DEP_1)
	v_add_f64 v[137:138], v[12:13], v[14:15]
	v_add_f64 v[12:13], v[102:103], -v[110:111]
	v_add_f64 v[14:15], v[127:128], -v[118:119]
	v_add_f64 v[139:140], v[12:13], v[14:15]
	v_add_f64 v[12:13], v[108:109], v[116:117]
	v_add_f64 v[108:109], v[108:109], -v[100:101]
	v_add_f64 v[100:101], v[100:101], v[125:126]
	v_add_f64 v[125:126], v[58:59], -v[82:83]
	s_delay_alu instid0(VALU_DEP_4)
	v_fma_f64 v[141:142], v[12:13], -0.5, v[92:93]
	v_add_f64 v[12:13], v[110:111], v[118:119]
	v_add_f64 v[110:111], v[110:111], -v[102:103]
	v_add_f64 v[102:103], v[102:103], v[127:128]
	v_fma_f64 v[100:101], v[100:101], -0.5, v[92:93]
	v_add_f64 v[108:109], v[108:109], v[112:113]
	v_add_f64 v[127:128], v[64:65], -v[74:75]
	v_fma_f64 v[14:15], v[149:150], s[14:15], v[141:142]
	v_fma_f64 v[143:144], v[12:13], -0.5, v[94:95]
	v_add_f64 v[110:111], v[110:111], v[114:115]
	v_fma_f64 v[102:103], v[102:103], -0.5, v[94:95]
	v_fma_f64 v[94:95], v[151:152], s[12:13], v[100:101]
	v_fma_f64 v[100:101], v[151:152], s[14:15], v[100:101]
	;; [unrolled: 1-line block ×16, first 2 shown]
	s_delay_alu instid0(VALU_DEP_4) | instskip(NEXT) | instid1(VALU_DEP_3)
	v_fma_f64 v[102:103], v[110:111], s[16:17], v[102:103]
	v_mul_f64 v[88:89], v[12:13], s[8:9]
	v_mul_f64 v[12:13], v[12:13], s[18:19]
	s_delay_alu instid0(VALU_DEP_4)
	v_mul_f64 v[96:97], v[92:93], s[14:15]
	v_mul_f64 v[92:93], v[92:93], s[16:17]
	;; [unrolled: 1-line block ×4, first 2 shown]
	v_fma_f64 v[153:154], v[14:15], s[18:19], v[88:89]
	v_fma_f64 v[14:15], v[14:15], s[2:3], v[12:13]
	;; [unrolled: 1-line block ×12, first 2 shown]
	s_delay_alu instid0(VALU_DEP_4) | instskip(NEXT) | instid1(VALU_DEP_4)
	v_fma_f64 v[12:13], v[157:158], s[8:9], v[12:13]
	v_fma_f64 v[88:89], v[161:162], s[2:3], v[88:89]
	s_delay_alu instid0(VALU_DEP_4) | instskip(NEXT) | instid1(VALU_DEP_4)
	v_fma_f64 v[112:113], v[104:105], s[16:17], v[92:93]
	v_fma_f64 v[114:115], v[106:107], s[16:17], v[94:95]
	;; [unrolled: 3-line block ×3, first 2 shown]
	s_delay_alu instid0(VALU_DEP_4)
	v_add_f64 v[92:93], v[112:113], v[96:97]
	v_add_f64 v[96:97], v[112:113], -v[96:97]
	v_fma_f64 v[112:113], v[157:158], s[14:15], v[131:132]
	v_add_f64 v[94:95], v[114:115], v[98:99]
	v_add_f64 v[98:99], v[114:115], -v[98:99]
	v_fma_f64 v[114:115], v[149:150], s[12:13], v[141:142]
	v_add_f64 v[88:89], v[12:13], v[153:154]
	v_add_f64 v[90:91], v[163:164], v[14:15]
	v_add_f64 v[12:13], v[12:13], -v[153:154]
	v_add_f64 v[14:15], v[163:164], -v[14:15]
	v_fma_f64 v[112:113], v[155:156], s[2:3], v[112:113]
	v_fma_f64 v[114:115], v[151:152], s[2:3], v[114:115]
	s_delay_alu instid0(VALU_DEP_2) | instskip(SKIP_1) | instid1(VALU_DEP_2)
	v_fma_f64 v[104:105], v[104:105], s[16:17], v[112:113]
	v_fma_f64 v[112:113], v[161:162], s[12:13], v[135:136]
	v_add_f64 v[100:101], v[104:105], v[108:109]
	s_delay_alu instid0(VALU_DEP_2) | instskip(SKIP_2) | instid1(VALU_DEP_3)
	v_fma_f64 v[112:113], v[159:160], s[8:9], v[112:113]
	v_add_f64 v[104:105], v[104:105], -v[108:109]
	v_fma_f64 v[108:109], v[145:146], s[14:15], v[143:144]
	v_fma_f64 v[106:107], v[106:107], s[16:17], v[112:113]
	;; [unrolled: 1-line block ×3, first 2 shown]
	s_delay_alu instid0(VALU_DEP_3) | instskip(NEXT) | instid1(VALU_DEP_3)
	v_fma_f64 v[108:109], v[147:148], s[8:9], v[108:109]
	v_add_f64 v[102:103], v[106:107], v[110:111]
	v_add_f64 v[106:107], v[106:107], -v[110:111]
	v_fma_f64 v[110:111], v[155:156], s[12:13], v[129:130]
	v_fma_f64 v[112:113], v[161:162], s[8:9], v[112:113]
	v_fma_f64 v[108:109], v[139:140], s[16:17], v[108:109]
	s_delay_alu instid0(VALU_DEP_3) | instskip(NEXT) | instid1(VALU_DEP_3)
	v_fma_f64 v[110:111], v[157:158], s[2:3], v[110:111]
	v_fma_f64 v[2:3], v[2:3], s[16:17], v[112:113]
	s_delay_alu instid0(VALU_DEP_3) | instskip(SKIP_1) | instid1(VALU_DEP_4)
	v_mul_f64 v[112:113], v[108:109], s[8:9]
	v_mul_f64 v[108:109], v[108:109], s[20:21]
	v_fma_f64 v[0:1], v[0:1], s[16:17], v[110:111]
	v_fma_f64 v[110:111], v[137:138], s[16:17], v[114:115]
	s_delay_alu instid0(VALU_DEP_1) | instskip(NEXT) | instid1(VALU_DEP_4)
	v_fma_f64 v[112:113], v[110:111], s[20:21], v[112:113]
	v_fma_f64 v[114:115], v[110:111], s[2:3], v[108:109]
	s_delay_alu instid0(VALU_DEP_2) | instskip(NEXT) | instid1(VALU_DEP_2)
	v_add_f64 v[108:109], v[0:1], v[112:113]
	v_add_f64 v[110:111], v[2:3], v[114:115]
	v_add_f64 v[112:113], v[0:1], -v[112:113]
	v_add_f64 v[114:115], v[2:3], -v[114:115]
	ds_load_b128 v[116:119], v124 offset:1600
	ds_load_b128 v[0:3], v124 offset:3200
	s_waitcnt lgkmcnt(0)
	s_barrier
	buffer_gl0_inv
	ds_store_b128 v204, v[4:7]
	ds_store_b128 v204, v[8:11] offset:2400
	ds_store_b128 v204, v[88:91] offset:480
	;; [unrolled: 1-line block ×9, first 2 shown]
	v_add_f64 v[4:5], v[64:65], v[74:75]
	v_add_f64 v[6:7], v[118:119], v[60:61]
	;; [unrolled: 1-line block ×4, first 2 shown]
	v_add_f64 v[112:113], v[62:63], -v[86:87]
	v_add_f64 v[114:115], v[70:71], -v[78:79]
	v_fma_f64 v[92:93], v[4:5], -0.5, v[116:117]
	v_add_f64 v[4:5], v[58:59], v[82:83]
	v_add_f64 v[6:7], v[6:7], v[66:67]
	;; [unrolled: 1-line block ×4, first 2 shown]
	s_delay_alu instid0(VALU_DEP_4) | instskip(SKIP_4) | instid1(VALU_DEP_4)
	v_fma_f64 v[94:95], v[4:5], -0.5, v[116:117]
	v_add_f64 v[4:5], v[66:67], v[76:77]
	v_add_f64 v[6:7], v[6:7], v[76:77]
	;; [unrolled: 1-line block ×4, first 2 shown]
	v_fma_f64 v[96:97], v[4:5], -0.5, v[118:119]
	v_add_f64 v[4:5], v[60:61], v[84:85]
	v_add_f64 v[14:15], v[6:7], v[84:85]
	;; [unrolled: 1-line block ×4, first 2 shown]
	s_delay_alu instid0(VALU_DEP_4) | instskip(SKIP_2) | instid1(VALU_DEP_4)
	v_fma_f64 v[98:99], v[4:5], -0.5, v[118:119]
	v_add_f64 v[4:5], v[116:117], v[58:59]
	v_add_f64 v[116:117], v[56:57], -v[80:81]
	v_add_f64 v[6:7], v[14:15], v[10:11]
	v_add_f64 v[10:11], v[14:15], -v[10:11]
	v_add_f64 v[14:15], v[82:83], -v[74:75]
	;; [unrolled: 1-line block ×3, first 2 shown]
	v_add_f64 v[4:5], v[4:5], v[64:65]
	s_delay_alu instid0(VALU_DEP_1) | instskip(NEXT) | instid1(VALU_DEP_1)
	v_add_f64 v[4:5], v[4:5], v[74:75]
	v_add_f64 v[12:13], v[4:5], v[82:83]
	s_delay_alu instid0(VALU_DEP_1)
	v_add_f64 v[4:5], v[12:13], v[8:9]
	v_add_f64 v[8:9], v[12:13], -v[8:9]
	v_add_f64 v[12:13], v[58:59], -v[64:65]
	;; [unrolled: 1-line block ×6, first 2 shown]
	v_add_f64 v[100:101], v[12:13], v[14:15]
	v_add_f64 v[12:13], v[60:61], -v[66:67]
	v_add_f64 v[14:15], v[84:85], -v[76:77]
	;; [unrolled: 1-line block ×4, first 2 shown]
	v_add_f64 v[64:65], v[58:59], v[64:65]
	v_add_f64 v[84:85], v[22:23], -v[46:47]
	v_add_f64 v[102:103], v[12:13], v[14:15]
	v_add_f64 v[12:13], v[62:63], -v[70:71]
	v_add_f64 v[14:15], v[86:87], -v[78:79]
	v_add_f64 v[60:61], v[60:61], v[66:67]
	s_delay_alu instid0(VALU_DEP_2) | instskip(SKIP_2) | instid1(VALU_DEP_1)
	v_add_f64 v[104:105], v[12:13], v[14:15]
	v_add_f64 v[12:13], v[56:57], -v[68:69]
	v_add_f64 v[14:15], v[80:81], -v[72:73]
	v_add_f64 v[106:107], v[12:13], v[14:15]
	v_add_f64 v[12:13], v[70:71], v[78:79]
	v_add_f64 v[70:71], v[70:71], -v[62:63]
	v_add_f64 v[62:63], v[62:63], v[86:87]
	v_add_f64 v[86:87], v[28:29], -v[38:39]
	s_delay_alu instid0(VALU_DEP_4)
	v_fma_f64 v[108:109], v[12:13], -0.5, v[52:53]
	v_add_f64 v[12:13], v[68:69], v[72:73]
	v_add_f64 v[68:69], v[68:69], -v[56:57]
	v_add_f64 v[56:57], v[56:57], v[80:81]
	v_add_f64 v[72:73], v[72:73], -v[80:81]
	v_fma_f64 v[62:63], v[62:63], -0.5, v[52:53]
	v_add_f64 v[66:67], v[70:71], v[74:75]
	v_add_f64 v[80:81], v[24:25], -v[48:49]
	v_fma_f64 v[14:15], v[116:117], s[14:15], v[108:109]
	v_fma_f64 v[110:111], v[12:13], -0.5, v[54:55]
	v_fma_f64 v[74:75], v[116:117], s[12:13], v[108:109]
	v_fma_f64 v[76:77], v[56:57], -0.5, v[54:55]
	v_add_f64 v[68:69], v[68:69], v[72:73]
	v_fma_f64 v[54:55], v[118:119], s[12:13], v[62:63]
	v_fma_f64 v[62:63], v[118:119], s[14:15], v[62:63]
	;; [unrolled: 1-line block ×13, first 2 shown]
	s_delay_alu instid0(VALU_DEP_4) | instskip(NEXT) | instid1(VALU_DEP_4)
	v_fma_f64 v[12:13], v[106:107], s[16:17], v[12:13]
	v_fma_f64 v[52:53], v[68:69], s[16:17], v[52:53]
	s_delay_alu instid0(VALU_DEP_2) | instskip(SKIP_1) | instid1(VALU_DEP_3)
	v_mul_f64 v[88:89], v[12:13], s[8:9]
	v_mul_f64 v[12:13], v[12:13], s[18:19]
	;; [unrolled: 1-line block ×4, first 2 shown]
	s_delay_alu instid0(VALU_DEP_4) | instskip(NEXT) | instid1(VALU_DEP_4)
	v_fma_f64 v[88:89], v[14:15], s[18:19], v[88:89]
	v_fma_f64 v[90:91], v[14:15], s[2:3], v[12:13]
	s_delay_alu instid0(VALU_DEP_4) | instskip(NEXT) | instid1(VALU_DEP_4)
	v_fma_f64 v[56:57], v[54:55], s[16:17], v[56:57]
	v_fma_f64 v[58:59], v[54:55], s[12:13], v[52:53]
	;; [unrolled: 1-line block ×6, first 2 shown]
	s_delay_alu instid0(VALU_DEP_4) | instskip(NEXT) | instid1(VALU_DEP_4)
	v_fma_f64 v[52:53], v[120:121], s[8:9], v[52:53]
	v_fma_f64 v[54:55], v[125:126], s[2:3], v[54:55]
	s_delay_alu instid0(VALU_DEP_4) | instskip(NEXT) | instid1(VALU_DEP_4)
	v_fma_f64 v[12:13], v[122:123], s[8:9], v[12:13]
	v_fma_f64 v[14:15], v[127:128], s[2:3], v[14:15]
	;; [unrolled: 3-line block ×4, first 2 shown]
	s_delay_alu instid0(VALU_DEP_4)
	v_add_f64 v[52:53], v[70:71], v[56:57]
	v_add_f64 v[56:57], v[70:71], -v[56:57]
	v_fma_f64 v[70:71], v[122:123], s[14:15], v[94:95]
	v_add_f64 v[54:55], v[72:73], v[58:59]
	v_add_f64 v[58:59], v[72:73], -v[58:59]
	v_fma_f64 v[72:73], v[125:126], s[14:15], v[96:97]
	v_add_f64 v[12:13], v[129:130], v[88:89]
	v_add_f64 v[14:15], v[131:132], v[90:91]
	v_add_f64 v[88:89], v[129:130], -v[88:89]
	v_add_f64 v[90:91], v[131:132], -v[90:91]
	v_fma_f64 v[70:71], v[120:121], s[2:3], v[70:71]
	v_fma_f64 v[72:73], v[127:128], s[8:9], v[72:73]
	s_delay_alu instid0(VALU_DEP_2) | instskip(SKIP_1) | instid1(VALU_DEP_3)
	v_fma_f64 v[64:65], v[64:65], s[16:17], v[70:71]
	v_fma_f64 v[70:71], v[127:128], s[12:13], v[98:99]
	v_fma_f64 v[78:79], v[102:103], s[16:17], v[72:73]
	s_delay_alu instid0(VALU_DEP_2) | instskip(NEXT) | instid1(VALU_DEP_1)
	v_fma_f64 v[70:71], v[125:126], s[8:9], v[70:71]
	v_fma_f64 v[70:71], v[60:61], s[16:17], v[70:71]
	;; [unrolled: 1-line block ×3, first 2 shown]
	s_delay_alu instid0(VALU_DEP_1) | instskip(NEXT) | instid1(VALU_DEP_1)
	v_fma_f64 v[60:61], v[112:113], s[8:9], v[60:61]
	v_fma_f64 v[60:61], v[68:69], s[16:17], v[60:61]
	s_delay_alu instid0(VALU_DEP_1) | instskip(SKIP_1) | instid1(VALU_DEP_2)
	v_mul_f64 v[66:67], v[60:61], s[14:15]
	v_mul_f64 v[60:61], v[60:61], s[22:23]
	v_fma_f64 v[66:67], v[62:63], s[22:23], v[66:67]
	s_delay_alu instid0(VALU_DEP_2) | instskip(NEXT) | instid1(VALU_DEP_2)
	v_fma_f64 v[68:69], v[62:63], s[12:13], v[60:61]
	v_add_f64 v[60:61], v[64:65], v[66:67]
	s_delay_alu instid0(VALU_DEP_2) | instskip(SKIP_4) | instid1(VALU_DEP_2)
	v_add_f64 v[62:63], v[70:71], v[68:69]
	v_add_f64 v[64:65], v[64:65], -v[66:67]
	v_add_f64 v[66:67], v[70:71], -v[68:69]
	v_fma_f64 v[68:69], v[112:113], s[14:15], v[110:111]
	v_fma_f64 v[70:71], v[120:121], s[12:13], v[92:93]
	;; [unrolled: 1-line block ×3, first 2 shown]
	s_delay_alu instid0(VALU_DEP_2) | instskip(NEXT) | instid1(VALU_DEP_2)
	v_fma_f64 v[70:71], v[122:123], s[2:3], v[70:71]
	v_fma_f64 v[68:69], v[106:107], s[16:17], v[68:69]
	s_delay_alu instid0(VALU_DEP_2) | instskip(SKIP_1) | instid1(VALU_DEP_3)
	v_fma_f64 v[76:77], v[100:101], s[16:17], v[70:71]
	v_fma_f64 v[70:71], v[104:105], s[16:17], v[74:75]
	v_mul_f64 v[72:73], v[68:69], s[8:9]
	v_mul_f64 v[68:69], v[68:69], s[20:21]
	s_delay_alu instid0(VALU_DEP_2) | instskip(NEXT) | instid1(VALU_DEP_2)
	v_fma_f64 v[72:73], v[70:71], s[20:21], v[72:73]
	v_fma_f64 v[74:75], v[70:71], s[2:3], v[68:69]
	s_delay_alu instid0(VALU_DEP_2) | instskip(NEXT) | instid1(VALU_DEP_2)
	v_add_f64 v[68:69], v[76:77], v[72:73]
	v_add_f64 v[70:71], v[78:79], v[74:75]
	v_add_f64 v[72:73], v[76:77], -v[72:73]
	v_add_f64 v[74:75], v[78:79], -v[74:75]
	ds_store_b128 v199, v[4:7]
	ds_store_b128 v199, v[12:15] offset:480
	ds_store_b128 v199, v[52:55] offset:960
	;; [unrolled: 1-line block ×9, first 2 shown]
	v_add_f64 v[4:5], v[28:29], v[38:39]
	v_add_f64 v[6:7], v[18:19], v[20:21]
	v_add_f64 v[76:77], v[20:21], -v[44:45]
	v_add_f64 v[78:79], v[32:33], -v[36:37]
	;; [unrolled: 1-line block ×4, first 2 shown]
	v_fma_f64 v[52:53], v[4:5], -0.5, v[0:1]
	v_add_f64 v[4:5], v[22:23], v[46:47]
	v_add_f64 v[6:7], v[6:7], v[32:33]
	s_delay_alu instid0(VALU_DEP_2) | instskip(SKIP_2) | instid1(VALU_DEP_4)
	v_fma_f64 v[54:55], v[4:5], -0.5, v[0:1]
	v_add_f64 v[4:5], v[30:31], v[40:41]
	v_add_f64 v[0:1], v[0:1], v[22:23]
	;; [unrolled: 1-line block ×3, first 2 shown]
	s_delay_alu instid0(VALU_DEP_3) | instskip(SKIP_1) | instid1(VALU_DEP_4)
	v_fma_f64 v[56:57], v[4:5], -0.5, v[2:3]
	v_add_f64 v[4:5], v[24:25], v[48:49]
	v_add_f64 v[0:1], v[0:1], v[28:29]
	s_delay_alu instid0(VALU_DEP_4) | instskip(NEXT) | instid1(VALU_DEP_3)
	v_add_f64 v[6:7], v[6:7], v[44:45]
	v_fma_f64 v[58:59], v[4:5], -0.5, v[2:3]
	v_add_f64 v[2:3], v[2:3], v[24:25]
	v_add_f64 v[4:5], v[16:17], v[26:27]
	;; [unrolled: 1-line block ×3, first 2 shown]
	s_delay_alu instid0(VALU_DEP_3) | instskip(NEXT) | instid1(VALU_DEP_3)
	v_add_f64 v[2:3], v[2:3], v[30:31]
	v_add_f64 v[4:5], v[4:5], v[34:35]
	s_delay_alu instid0(VALU_DEP_3) | instskip(NEXT) | instid1(VALU_DEP_3)
	v_add_f64 v[8:9], v[0:1], v[46:47]
	v_add_f64 v[2:3], v[2:3], v[40:41]
	s_delay_alu instid0(VALU_DEP_3) | instskip(NEXT) | instid1(VALU_DEP_2)
	v_add_f64 v[4:5], v[4:5], v[42:43]
	v_add_f64 v[10:11], v[2:3], v[48:49]
	s_delay_alu instid0(VALU_DEP_2) | instskip(NEXT) | instid1(VALU_DEP_2)
	v_add_f64 v[4:5], v[4:5], v[50:51]
	v_add_f64 v[2:3], v[10:11], v[6:7]
	s_delay_alu instid0(VALU_DEP_2)
	v_add_f64 v[0:1], v[8:9], v[4:5]
	v_add_f64 v[4:5], v[8:9], -v[4:5]
	v_add_f64 v[6:7], v[10:11], -v[6:7]
	;; [unrolled: 1-line block ×7, first 2 shown]
	s_delay_alu instid0(VALU_DEP_4)
	v_add_f64 v[60:61], v[8:9], v[10:11]
	v_add_f64 v[8:9], v[24:25], -v[30:31]
	v_add_f64 v[10:11], v[48:49], -v[40:41]
	;; [unrolled: 1-line block ×4, first 2 shown]
	v_add_f64 v[28:29], v[22:23], v[28:29]
	s_delay_alu instid0(VALU_DEP_4) | instskip(SKIP_3) | instid1(VALU_DEP_2)
	v_add_f64 v[62:63], v[8:9], v[10:11]
	v_add_f64 v[8:9], v[26:27], -v[34:35]
	v_add_f64 v[10:11], v[50:51], -v[42:43]
	v_add_f64 v[24:25], v[24:25], v[30:31]
	v_add_f64 v[64:65], v[8:9], v[10:11]
	v_add_f64 v[8:9], v[20:21], -v[32:33]
	v_add_f64 v[10:11], v[44:45], -v[36:37]
	s_delay_alu instid0(VALU_DEP_1) | instskip(SKIP_3) | instid1(VALU_DEP_3)
	v_add_f64 v[66:67], v[8:9], v[10:11]
	v_add_f64 v[8:9], v[34:35], v[42:43]
	v_add_f64 v[34:35], v[34:35], -v[26:27]
	v_add_f64 v[26:27], v[26:27], v[50:51]
	v_fma_f64 v[68:69], v[8:9], -0.5, v[16:17]
	v_add_f64 v[8:9], v[32:33], v[36:37]
	v_add_f64 v[32:33], v[32:33], -v[20:21]
	v_add_f64 v[20:21], v[20:21], v[44:45]
	v_add_f64 v[36:37], v[36:37], -v[44:45]
	v_fma_f64 v[26:27], v[26:27], -0.5, v[16:17]
	v_add_f64 v[30:31], v[34:35], v[38:39]
	v_fma_f64 v[10:11], v[76:77], s[14:15], v[68:69]
	v_fma_f64 v[70:71], v[8:9], -0.5, v[18:19]
	v_fma_f64 v[38:39], v[76:77], s[12:13], v[68:69]
	v_fma_f64 v[40:41], v[20:21], -0.5, v[18:19]
	v_add_f64 v[32:33], v[32:33], v[36:37]
	v_fma_f64 v[18:19], v[78:79], s[12:13], v[26:27]
	v_fma_f64 v[26:27], v[78:79], s[14:15], v[26:27]
	;; [unrolled: 1-line block ×13, first 2 shown]
	s_delay_alu instid0(VALU_DEP_4) | instskip(NEXT) | instid1(VALU_DEP_4)
	v_fma_f64 v[8:9], v[66:67], s[16:17], v[8:9]
	v_fma_f64 v[16:17], v[32:33], s[16:17], v[16:17]
	s_delay_alu instid0(VALU_DEP_2) | instskip(SKIP_1) | instid1(VALU_DEP_3)
	v_mul_f64 v[12:13], v[8:9], s[8:9]
	v_mul_f64 v[8:9], v[8:9], s[18:19]
	;; [unrolled: 1-line block ×4, first 2 shown]
	s_delay_alu instid0(VALU_DEP_4) | instskip(NEXT) | instid1(VALU_DEP_4)
	v_fma_f64 v[12:13], v[10:11], s[18:19], v[12:13]
	v_fma_f64 v[14:15], v[10:11], s[2:3], v[8:9]
	s_delay_alu instid0(VALU_DEP_4) | instskip(NEXT) | instid1(VALU_DEP_4)
	v_fma_f64 v[20:21], v[18:19], s[16:17], v[20:21]
	v_fma_f64 v[22:23], v[18:19], s[12:13], v[16:17]
	;; [unrolled: 1-line block ×6, first 2 shown]
	s_delay_alu instid0(VALU_DEP_4) | instskip(NEXT) | instid1(VALU_DEP_4)
	v_fma_f64 v[16:17], v[80:81], s[8:9], v[16:17]
	v_fma_f64 v[18:19], v[84:85], s[2:3], v[18:19]
	s_delay_alu instid0(VALU_DEP_4) | instskip(NEXT) | instid1(VALU_DEP_4)
	v_fma_f64 v[8:9], v[82:83], s[8:9], v[8:9]
	v_fma_f64 v[10:11], v[86:87], s[2:3], v[10:11]
	;; [unrolled: 3-line block ×4, first 2 shown]
	s_delay_alu instid0(VALU_DEP_4)
	v_add_f64 v[16:17], v[34:35], v[20:21]
	v_add_f64 v[20:21], v[34:35], -v[20:21]
	v_fma_f64 v[34:35], v[82:83], s[14:15], v[54:55]
	v_add_f64 v[18:19], v[36:37], v[22:23]
	v_add_f64 v[22:23], v[36:37], -v[22:23]
	v_fma_f64 v[36:37], v[84:85], s[14:15], v[56:57]
	v_add_f64 v[8:9], v[88:89], v[12:13]
	v_add_f64 v[10:11], v[90:91], v[14:15]
	v_add_f64 v[12:13], v[88:89], -v[12:13]
	v_add_f64 v[14:15], v[90:91], -v[14:15]
	v_fma_f64 v[34:35], v[80:81], s[2:3], v[34:35]
	v_fma_f64 v[36:37], v[86:87], s[8:9], v[36:37]
	s_delay_alu instid0(VALU_DEP_2) | instskip(SKIP_1) | instid1(VALU_DEP_3)
	v_fma_f64 v[28:29], v[28:29], s[16:17], v[34:35]
	v_fma_f64 v[34:35], v[86:87], s[12:13], v[58:59]
	;; [unrolled: 1-line block ×3, first 2 shown]
	s_delay_alu instid0(VALU_DEP_2) | instskip(NEXT) | instid1(VALU_DEP_1)
	v_fma_f64 v[34:35], v[84:85], s[8:9], v[34:35]
	v_fma_f64 v[34:35], v[24:25], s[16:17], v[34:35]
	v_fma_f64 v[24:25], v[74:75], s[12:13], v[40:41]
	s_delay_alu instid0(VALU_DEP_1) | instskip(NEXT) | instid1(VALU_DEP_1)
	v_fma_f64 v[24:25], v[72:73], s[8:9], v[24:25]
	v_fma_f64 v[24:25], v[32:33], s[16:17], v[24:25]
	s_delay_alu instid0(VALU_DEP_1) | instskip(SKIP_1) | instid1(VALU_DEP_2)
	v_mul_f64 v[30:31], v[24:25], s[14:15]
	v_mul_f64 v[24:25], v[24:25], s[22:23]
	v_fma_f64 v[30:31], v[26:27], s[22:23], v[30:31]
	s_delay_alu instid0(VALU_DEP_2) | instskip(NEXT) | instid1(VALU_DEP_2)
	v_fma_f64 v[32:33], v[26:27], s[12:13], v[24:25]
	v_add_f64 v[24:25], v[28:29], v[30:31]
	s_delay_alu instid0(VALU_DEP_2) | instskip(SKIP_4) | instid1(VALU_DEP_2)
	v_add_f64 v[26:27], v[34:35], v[32:33]
	v_add_f64 v[28:29], v[28:29], -v[30:31]
	v_add_f64 v[30:31], v[34:35], -v[32:33]
	v_fma_f64 v[32:33], v[72:73], s[14:15], v[70:71]
	v_fma_f64 v[34:35], v[80:81], s[12:13], v[52:53]
	;; [unrolled: 1-line block ×3, first 2 shown]
	s_delay_alu instid0(VALU_DEP_2) | instskip(NEXT) | instid1(VALU_DEP_2)
	v_fma_f64 v[34:35], v[82:83], s[2:3], v[34:35]
	v_fma_f64 v[32:33], v[66:67], s[16:17], v[32:33]
	s_delay_alu instid0(VALU_DEP_2) | instskip(SKIP_1) | instid1(VALU_DEP_3)
	v_fma_f64 v[40:41], v[60:61], s[16:17], v[34:35]
	v_fma_f64 v[34:35], v[64:65], s[16:17], v[38:39]
	v_mul_f64 v[36:37], v[32:33], s[8:9]
	v_mul_f64 v[32:33], v[32:33], s[20:21]
	s_delay_alu instid0(VALU_DEP_2) | instskip(NEXT) | instid1(VALU_DEP_2)
	v_fma_f64 v[36:37], v[34:35], s[20:21], v[36:37]
	v_fma_f64 v[38:39], v[34:35], s[2:3], v[32:33]
	s_delay_alu instid0(VALU_DEP_2) | instskip(NEXT) | instid1(VALU_DEP_2)
	v_add_f64 v[32:33], v[40:41], v[36:37]
	v_add_f64 v[34:35], v[42:43], v[38:39]
	v_add_f64 v[36:37], v[40:41], -v[36:37]
	v_add_f64 v[38:39], v[42:43], -v[38:39]
	ds_store_b128 v182, v[0:3]
	ds_store_b128 v182, v[8:11] offset:480
	ds_store_b128 v182, v[16:19] offset:960
	;; [unrolled: 1-line block ×9, first 2 shown]
	s_waitcnt lgkmcnt(0)
	s_barrier
	buffer_gl0_inv
	scratch_load_b128 v[6:9], off, off offset:1308 ; 16-byte Folded Reload
	ds_load_b128 v[0:3], v124 offset:4800
	s_waitcnt vmcnt(0) lgkmcnt(0)
	v_mul_f64 v[4:5], v[8:9], v[2:3]
	s_delay_alu instid0(VALU_DEP_1) | instskip(SKIP_1) | instid1(VALU_DEP_1)
	v_fma_f64 v[16:17], v[6:7], v[0:1], v[4:5]
	v_mul_f64 v[0:1], v[8:9], v[0:1]
	v_fma_f64 v[18:19], v[6:7], v[2:3], -v[0:1]
	scratch_load_b128 v[6:9], off, off offset:1324 ; 16-byte Folded Reload
	ds_load_b128 v[0:3], v124 offset:9600
	s_waitcnt vmcnt(0) lgkmcnt(0)
	v_mul_f64 v[4:5], v[8:9], v[2:3]
	s_delay_alu instid0(VALU_DEP_1) | instskip(SKIP_1) | instid1(VALU_DEP_1)
	v_fma_f64 v[20:21], v[6:7], v[0:1], v[4:5]
	v_mul_f64 v[0:1], v[8:9], v[0:1]
	v_fma_f64 v[22:23], v[6:7], v[2:3], -v[0:1]
	;; [unrolled: 8-line block ×5, first 2 shown]
	scratch_load_b128 v[6:9], off, off offset:1356 ; 16-byte Folded Reload
	ds_load_b128 v[0:3], v124 offset:28800
	s_waitcnt vmcnt(0) lgkmcnt(0)
	v_mul_f64 v[4:5], v[8:9], v[2:3]
	s_delay_alu instid0(VALU_DEP_1) | instskip(SKIP_1) | instid1(VALU_DEP_2)
	v_fma_f64 v[142:143], v[6:7], v[0:1], v[4:5]
	v_mul_f64 v[0:1], v[8:9], v[0:1]
	v_add_f64 v[88:89], v[132:133], -v[142:143]
	s_delay_alu instid0(VALU_DEP_2)
	v_fma_f64 v[144:145], v[6:7], v[2:3], -v[0:1]
	scratch_load_b128 v[6:9], off, off offset:1372 ; 16-byte Folded Reload
	ds_load_b128 v[0:3], v124 offset:33600
	v_add_f64 v[84:85], v[134:135], -v[144:145]
	s_waitcnt vmcnt(0) lgkmcnt(0)
	v_mul_f64 v[4:5], v[8:9], v[2:3]
	s_delay_alu instid0(VALU_DEP_1) | instskip(SKIP_1) | instid1(VALU_DEP_2)
	v_fma_f64 v[146:147], v[6:7], v[0:1], v[4:5]
	v_mul_f64 v[0:1], v[8:9], v[0:1]
	v_add_f64 v[74:75], v[138:139], -v[146:147]
	s_delay_alu instid0(VALU_DEP_2)
	v_fma_f64 v[148:149], v[6:7], v[2:3], -v[0:1]
	scratch_load_b128 v[6:9], off, off offset:1396 ; 16-byte Folded Reload
	ds_load_b128 v[0:3], v124 offset:38400
	v_add_f64 v[76:77], v[140:141], -v[148:149]
	;; [unrolled: 11-line block ×4, first 2 shown]
	s_waitcnt vmcnt(0) lgkmcnt(0)
	v_mul_f64 v[4:5], v[8:9], v[2:3]
	s_delay_alu instid0(VALU_DEP_1) | instskip(SKIP_1) | instid1(VALU_DEP_1)
	v_fma_f64 v[128:129], v[6:7], v[0:1], v[4:5]
	v_mul_f64 v[0:1], v[8:9], v[0:1]
	v_fma_f64 v[136:137], v[6:7], v[2:3], -v[0:1]
	scratch_load_b128 v[6:9], off, off offset:1444 ; 16-byte Folded Reload
	ds_load_b128 v[0:3], v124 offset:11200
	s_waitcnt vmcnt(0) lgkmcnt(0)
	v_mul_f64 v[4:5], v[8:9], v[2:3]
	s_delay_alu instid0(VALU_DEP_1) | instskip(SKIP_1) | instid1(VALU_DEP_1)
	v_fma_f64 v[126:127], v[6:7], v[0:1], v[4:5]
	v_mul_f64 v[0:1], v[8:9], v[0:1]
	v_fma_f64 v[120:121], v[6:7], v[2:3], -v[0:1]
	scratch_load_b128 v[6:9], off, off offset:1460 ; 16-byte Folded Reload
	ds_load_b128 v[0:3], v124 offset:16000
	;; [unrolled: 8-line block ×5, first 2 shown]
	s_waitcnt vmcnt(0) lgkmcnt(0)
	v_mul_f64 v[4:5], v[8:9], v[2:3]
	s_delay_alu instid0(VALU_DEP_1) | instskip(SKIP_1) | instid1(VALU_DEP_2)
	v_fma_f64 v[110:111], v[6:7], v[0:1], v[4:5]
	v_mul_f64 v[0:1], v[8:9], v[0:1]
	v_add_f64 v[172:173], v[118:119], -v[110:111]
	s_delay_alu instid0(VALU_DEP_2)
	v_fma_f64 v[104:105], v[6:7], v[2:3], -v[0:1]
	ds_load_b128 v[0:3], v124 offset:35200
	v_add_f64 v[6:7], v[18:19], v[130:131]
	s_waitcnt lgkmcnt(0)
	v_mul_f64 v[4:5], v[252:253], v[2:3]
	v_add_f64 v[168:169], v[112:113], -v[104:105]
	s_delay_alu instid0(VALU_DEP_3) | instskip(NEXT) | instid1(VALU_DEP_3)
	v_add_f64 v[6:7], v[6:7], v[140:141]
	v_fma_f64 v[106:107], v[250:251], v[0:1], v[4:5]
	v_mul_f64 v[0:1], v[252:253], v[0:1]
	s_delay_alu instid0(VALU_DEP_3) | instskip(NEXT) | instid1(VALU_DEP_2)
	v_add_f64 v[6:7], v[6:7], v[148:149]
	v_fma_f64 v[100:101], v[250:251], v[2:3], -v[0:1]
	ds_load_b128 v[0:3], v124 offset:40000
	v_add_f64 v[10:11], v[6:7], v[156:157]
	s_waitcnt lgkmcnt(0)
	v_mul_f64 v[4:5], v[246:247], v[2:3]
	s_delay_alu instid0(VALU_DEP_1) | instskip(SKIP_1) | instid1(VALU_DEP_2)
	v_fma_f64 v[102:103], v[244:245], v[0:1], v[4:5]
	v_mul_f64 v[0:1], v[246:247], v[0:1]
	v_add_f64 v[170:171], v[126:127], -v[102:103]
	s_delay_alu instid0(VALU_DEP_2) | instskip(SKIP_4) | instid1(VALU_DEP_2)
	v_fma_f64 v[96:97], v[244:245], v[2:3], -v[0:1]
	ds_load_b128 v[0:3], v124 offset:44800
	s_waitcnt lgkmcnt(0)
	v_mul_f64 v[4:5], v[242:243], v[2:3]
	v_add_f64 v[166:167], v[120:121], -v[96:97]
	v_fma_f64 v[98:99], v[240:241], v[0:1], v[4:5]
	v_mul_f64 v[0:1], v[242:243], v[0:1]
	s_delay_alu instid0(VALU_DEP_1) | instskip(SKIP_3) | instid1(VALU_DEP_1)
	v_fma_f64 v[92:93], v[240:241], v[2:3], -v[0:1]
	ds_load_b128 v[0:3], v124 offset:8000
	s_waitcnt lgkmcnt(0)
	v_mul_f64 v[4:5], v[238:239], v[2:3]
	v_fma_f64 v[24:25], v[236:237], v[0:1], v[4:5]
	v_mul_f64 v[0:1], v[238:239], v[0:1]
	s_delay_alu instid0(VALU_DEP_1) | instskip(SKIP_3) | instid1(VALU_DEP_1)
	v_fma_f64 v[26:27], v[236:237], v[2:3], -v[0:1]
	ds_load_b128 v[0:3], v124 offset:12800
	s_waitcnt lgkmcnt(0)
	v_mul_f64 v[4:5], v[234:235], v[2:3]
	;; [unrolled: 7-line block ×9, first 2 shown]
	v_fma_f64 v[56:57], v[213:214], v[0:1], v[4:5]
	v_mul_f64 v[0:1], v[215:216], v[0:1]
	v_add_f64 v[4:5], v[132:133], v[142:143]
	s_delay_alu instid0(VALU_DEP_2) | instskip(SKIP_4) | instid1(VALU_DEP_1)
	v_fma_f64 v[58:59], v[213:214], v[2:3], -v[0:1]
	ds_load_b128 v[0:3], v124
	s_waitcnt lgkmcnt(0)
	v_fma_f64 v[60:61], v[4:5], -0.5, v[0:1]
	v_add_f64 v[4:5], v[20:21], v[150:151]
	v_fma_f64 v[158:159], v[4:5], -0.5, v[0:1]
	v_add_f64 v[4:5], v[134:135], v[144:145]
	v_add_f64 v[0:1], v[0:1], v[20:21]
	s_delay_alu instid0(VALU_DEP_2) | instskip(SKIP_1) | instid1(VALU_DEP_3)
	v_fma_f64 v[62:63], v[4:5], -0.5, v[2:3]
	v_add_f64 v[4:5], v[22:23], v[152:153]
	v_add_f64 v[0:1], v[0:1], v[132:133]
	s_delay_alu instid0(VALU_DEP_2) | instskip(SKIP_2) | instid1(VALU_DEP_4)
	v_fma_f64 v[160:161], v[4:5], -0.5, v[2:3]
	v_add_f64 v[2:3], v[2:3], v[22:23]
	v_add_f64 v[4:5], v[16:17], v[94:95]
	;; [unrolled: 1-line block ×3, first 2 shown]
	s_delay_alu instid0(VALU_DEP_3) | instskip(NEXT) | instid1(VALU_DEP_3)
	v_add_f64 v[2:3], v[2:3], v[134:135]
	v_add_f64 v[4:5], v[4:5], v[138:139]
	s_delay_alu instid0(VALU_DEP_3) | instskip(NEXT) | instid1(VALU_DEP_3)
	v_add_f64 v[0:1], v[0:1], v[150:151]
	v_add_f64 v[2:3], v[2:3], v[144:145]
	s_delay_alu instid0(VALU_DEP_3) | instskip(NEXT) | instid1(VALU_DEP_2)
	v_add_f64 v[4:5], v[4:5], v[146:147]
	v_add_f64 v[2:3], v[2:3], v[152:153]
	s_delay_alu instid0(VALU_DEP_2) | instskip(NEXT) | instid1(VALU_DEP_2)
	v_add_f64 v[8:9], v[4:5], v[154:155]
	v_add_f64 v[6:7], v[2:3], v[10:11]
	s_delay_alu instid0(VALU_DEP_2)
	v_add_f64 v[4:5], v[0:1], v[8:9]
	v_add_f64 v[0:1], v[0:1], -v[8:9]
	v_add_f64 v[2:3], v[2:3], -v[10:11]
	;; [unrolled: 1-line block ×7, first 2 shown]
	s_delay_alu instid0(VALU_DEP_4)
	v_add_f64 v[64:65], v[8:9], v[10:11]
	v_add_f64 v[8:9], v[22:23], -v[134:135]
	v_add_f64 v[10:11], v[152:153], -v[144:145]
	;; [unrolled: 1-line block ×5, first 2 shown]
	v_add_f64 v[132:133], v[20:21], v[132:133]
	v_add_f64 v[66:67], v[8:9], v[10:11]
	v_add_f64 v[8:9], v[94:95], -v[138:139]
	v_add_f64 v[10:11], v[154:155], -v[146:147]
	v_add_f64 v[134:135], v[22:23], v[134:135]
	s_delay_alu instid0(VALU_DEP_2) | instskip(SKIP_2) | instid1(VALU_DEP_1)
	v_add_f64 v[68:69], v[8:9], v[10:11]
	v_add_f64 v[8:9], v[130:131], -v[140:141]
	v_add_f64 v[10:11], v[156:157], -v[148:149]
	v_add_f64 v[70:71], v[8:9], v[10:11]
	v_add_f64 v[8:9], v[138:139], v[146:147]
	v_add_f64 v[138:139], v[138:139], -v[94:95]
	v_add_f64 v[94:95], v[94:95], v[154:155]
	s_delay_alu instid0(VALU_DEP_3)
	v_fma_f64 v[72:73], v[8:9], -0.5, v[16:17]
	v_add_f64 v[8:9], v[140:141], v[148:149]
	v_add_f64 v[140:141], v[140:141], -v[130:131]
	v_add_f64 v[130:131], v[130:131], v[156:157]
	v_fma_f64 v[94:95], v[94:95], -0.5, v[16:17]
	v_add_f64 v[138:139], v[138:139], v[142:143]
	v_fma_f64 v[10:11], v[82:83], s[14:15], v[72:73]
	v_fma_f64 v[78:79], v[8:9], -0.5, v[18:19]
	v_add_f64 v[140:141], v[140:141], v[144:145]
	v_fma_f64 v[130:131], v[130:131], -0.5, v[18:19]
	v_fma_f64 v[18:19], v[76:77], s[12:13], v[94:95]
	v_fma_f64 v[94:95], v[76:77], s[14:15], v[94:95]
	;; [unrolled: 1-line block ×22, first 2 shown]
	v_add_f64 v[74:75], v[136:137], v[116:117]
	v_fma_f64 v[140:141], v[140:141], s[16:17], v[130:131]
	v_fma_f64 v[130:131], v[88:89], s[12:13], v[160:161]
	;; [unrolled: 1-line block ×3, first 2 shown]
	v_mul_f64 v[12:13], v[8:9], s[8:9]
	v_mul_f64 v[8:9], v[8:9], s[18:19]
	;; [unrolled: 1-line block ×4, first 2 shown]
	v_add_f64 v[74:75], v[74:75], v[108:109]
	v_fma_f64 v[130:131], v[90:91], s[8:9], v[130:131]
	v_fma_f64 v[94:95], v[132:133], s[16:17], v[94:95]
	;; [unrolled: 1-line block ×13, first 2 shown]
	v_add_f64 v[74:75], v[74:75], v[100:101]
	v_add_f64 v[158:159], v[122:123], -v[98:99]
	v_add_f64 v[160:161], v[114:115], -v[106:107]
	v_fma_f64 v[8:9], v[84:85], s[8:9], v[8:9]
	v_fma_f64 v[12:13], v[88:89], s[2:3], v[12:13]
	;; [unrolled: 1-line block ×4, first 2 shown]
	v_add_f64 v[88:89], v[112:113], -v[120:121]
	v_fma_f64 v[16:17], v[86:87], s[8:9], v[16:17]
	v_fma_f64 v[20:21], v[90:91], s[2:3], v[20:21]
	v_add_f64 v[90:91], v[104:105], -v[96:97]
	v_add_f64 v[74:75], v[74:75], v[92:93]
	v_fma_f64 v[8:9], v[64:65], s[16:17], v[8:9]
	v_fma_f64 v[164:165], v[66:67], s[16:17], v[12:13]
	;; [unrolled: 1-line block ×5, first 2 shown]
	v_mul_f64 v[62:63], v[70:71], s[8:9]
	v_mul_f64 v[68:69], v[70:71], s[20:21]
	v_fma_f64 v[16:17], v[132:133], s[16:17], v[16:17]
	v_mul_f64 v[132:133], v[140:141], s[14:15]
	v_mul_f64 v[140:141], v[140:141], s[22:23]
	v_fma_f64 v[144:145], v[134:135], s[16:17], v[20:21]
	v_add_f64 v[72:73], v[118:119], v[110:111]
	v_add_f64 v[12:13], v[8:9], v[162:163]
	v_add_f64 v[8:9], v[8:9], -v[162:163]
	v_add_f64 v[162:163], v[116:117], -v[92:93]
	v_add_f64 v[14:15], v[164:165], v[10:11]
	v_add_f64 v[10:11], v[164:165], -v[10:11]
	v_fma_f64 v[70:71], v[60:61], s[20:21], v[62:63]
	v_fma_f64 v[68:69], v[60:61], s[2:3], v[68:69]
	v_add_f64 v[20:21], v[16:17], v[142:143]
	v_fma_f64 v[134:135], v[138:139], s[22:23], v[132:133]
	v_fma_f64 v[132:133], v[138:139], s[12:13], v[140:141]
	v_add_f64 v[22:23], v[144:145], v[18:19]
	v_add_f64 v[18:19], v[144:145], -v[18:19]
	v_add_f64 v[16:17], v[16:17], -v[142:143]
	;; [unrolled: 1-line block ×3, first 2 shown]
	v_add_f64 v[60:61], v[64:65], v[70:71]
	v_add_f64 v[62:63], v[66:67], v[68:69]
	v_add_f64 v[64:65], v[64:65], -v[70:71]
	v_add_f64 v[66:67], v[66:67], -v[68:69]
	ds_load_b128 v[68:71], v124 offset:1600
	v_add_f64 v[140:141], v[130:131], v[132:133]
	v_add_f64 v[144:145], v[130:131], -v[132:133]
	v_add_f64 v[138:139], v[94:95], v[134:135]
	v_add_f64 v[142:143], v[94:95], -v[134:135]
	s_waitcnt lgkmcnt(0)
	v_fma_f64 v[130:131], v[72:73], -0.5, v[68:69]
	v_add_f64 v[72:73], v[126:127], v[102:103]
	s_delay_alu instid0(VALU_DEP_1) | instskip(SKIP_2) | instid1(VALU_DEP_2)
	v_fma_f64 v[94:95], v[72:73], -0.5, v[68:69]
	v_add_f64 v[72:73], v[112:113], v[104:105]
	v_add_f64 v[68:69], v[68:69], v[126:127]
	v_fma_f64 v[132:133], v[72:73], -0.5, v[70:71]
	v_add_f64 v[72:73], v[120:121], v[96:97]
	s_delay_alu instid0(VALU_DEP_3) | instskip(NEXT) | instid1(VALU_DEP_2)
	v_add_f64 v[68:69], v[68:69], v[118:119]
	v_fma_f64 v[134:135], v[72:73], -0.5, v[70:71]
	v_add_f64 v[70:71], v[70:71], v[120:121]
	v_add_f64 v[72:73], v[128:129], v[122:123]
	s_delay_alu instid0(VALU_DEP_4) | instskip(NEXT) | instid1(VALU_DEP_3)
	v_add_f64 v[68:69], v[68:69], v[110:111]
	v_add_f64 v[70:71], v[70:71], v[112:113]
	s_delay_alu instid0(VALU_DEP_3) | instskip(NEXT) | instid1(VALU_DEP_3)
	v_add_f64 v[72:73], v[72:73], v[114:115]
	v_add_f64 v[76:77], v[68:69], v[102:103]
	s_delay_alu instid0(VALU_DEP_3) | instskip(NEXT) | instid1(VALU_DEP_3)
	v_add_f64 v[70:71], v[70:71], v[104:105]
	v_add_f64 v[72:73], v[72:73], v[106:107]
	s_delay_alu instid0(VALU_DEP_2) | instskip(NEXT) | instid1(VALU_DEP_2)
	v_add_f64 v[78:79], v[70:71], v[96:97]
	v_add_f64 v[72:73], v[72:73], v[98:99]
	s_delay_alu instid0(VALU_DEP_2) | instskip(NEXT) | instid1(VALU_DEP_2)
	v_add_f64 v[70:71], v[78:79], v[74:75]
	v_add_f64 v[68:69], v[76:77], v[72:73]
	v_add_f64 v[72:73], v[76:77], -v[72:73]
	v_add_f64 v[74:75], v[78:79], -v[74:75]
	;; [unrolled: 1-line block ×4, first 2 shown]
	s_delay_alu instid0(VALU_DEP_1)
	v_add_f64 v[146:147], v[76:77], v[78:79]
	v_add_f64 v[76:77], v[120:121], -v[112:113]
	v_add_f64 v[78:79], v[96:97], -v[104:105]
	;; [unrolled: 1-line block ×4, first 2 shown]
	v_add_f64 v[112:113], v[36:37], v[44:45]
	s_delay_alu instid0(VALU_DEP_4) | instskip(SKIP_2) | instid1(VALU_DEP_1)
	v_add_f64 v[148:149], v[76:77], v[78:79]
	v_add_f64 v[76:77], v[122:123], -v[114:115]
	v_add_f64 v[78:79], v[98:99], -v[106:107]
	v_add_f64 v[150:151], v[76:77], v[78:79]
	v_add_f64 v[76:77], v[116:117], -v[108:109]
	v_add_f64 v[78:79], v[92:93], -v[100:101]
	s_delay_alu instid0(VALU_DEP_1) | instskip(SKIP_2) | instid1(VALU_DEP_2)
	v_add_f64 v[152:153], v[76:77], v[78:79]
	v_add_f64 v[76:77], v[114:115], v[106:107]
	;; [unrolled: 1-line block ×3, first 2 shown]
	v_fma_f64 v[154:155], v[76:77], -0.5, v[128:129]
	v_add_f64 v[76:77], v[108:109], v[100:101]
	v_add_f64 v[108:109], v[88:89], v[90:91]
	s_delay_alu instid0(VALU_DEP_4) | instskip(NEXT) | instid1(VALU_DEP_4)
	v_add_f64 v[114:115], v[114:115], v[42:43]
	v_fma_f64 v[78:79], v[162:163], s[14:15], v[154:155]
	s_delay_alu instid0(VALU_DEP_4) | instskip(NEXT) | instid1(VALU_DEP_3)
	v_fma_f64 v[156:157], v[76:77], -0.5, v[136:137]
	v_add_f64 v[114:115], v[114:115], v[50:51]
	s_delay_alu instid0(VALU_DEP_3) | instskip(NEXT) | instid1(VALU_DEP_3)
	v_fma_f64 v[78:79], v[164:165], s[8:9], v[78:79]
	v_fma_f64 v[76:77], v[158:159], s[12:13], v[156:157]
	s_delay_alu instid0(VALU_DEP_3) | instskip(NEXT) | instid1(VALU_DEP_3)
	v_add_f64 v[114:115], v[114:115], v[58:59]
	v_fma_f64 v[78:79], v[150:151], s[16:17], v[78:79]
	s_delay_alu instid0(VALU_DEP_3) | instskip(NEXT) | instid1(VALU_DEP_1)
	v_fma_f64 v[76:77], v[160:161], s[2:3], v[76:77]
	v_fma_f64 v[76:77], v[152:153], s[16:17], v[76:77]
	s_delay_alu instid0(VALU_DEP_1) | instskip(SKIP_1) | instid1(VALU_DEP_2)
	v_mul_f64 v[80:81], v[76:77], s[8:9]
	v_mul_f64 v[76:77], v[76:77], s[18:19]
	v_fma_f64 v[80:81], v[78:79], s[18:19], v[80:81]
	s_delay_alu instid0(VALU_DEP_2) | instskip(SKIP_2) | instid1(VALU_DEP_2)
	v_fma_f64 v[82:83], v[78:79], s[2:3], v[76:77]
	v_fma_f64 v[78:79], v[170:171], s[12:13], v[132:133]
	;; [unrolled: 1-line block ×4, first 2 shown]
	s_delay_alu instid0(VALU_DEP_2) | instskip(NEXT) | instid1(VALU_DEP_2)
	v_fma_f64 v[76:77], v[168:169], s[8:9], v[76:77]
	v_fma_f64 v[86:87], v[148:149], s[16:17], v[78:79]
	s_delay_alu instid0(VALU_DEP_2) | instskip(NEXT) | instid1(VALU_DEP_2)
	v_fma_f64 v[84:85], v[146:147], s[16:17], v[76:77]
	v_add_f64 v[78:79], v[86:87], v[82:83]
	v_add_f64 v[82:83], v[86:87], -v[82:83]
	v_add_f64 v[86:87], v[110:111], -v[102:103]
	v_add_f64 v[102:103], v[122:123], v[98:99]
	v_add_f64 v[98:99], v[106:107], -v[98:99]
	v_add_f64 v[106:107], v[116:117], v[92:93]
	v_add_f64 v[76:77], v[84:85], v[80:81]
	v_add_f64 v[80:81], v[84:85], -v[80:81]
	v_add_f64 v[84:85], v[118:119], -v[126:127]
	;; [unrolled: 1-line block ×3, first 2 shown]
	v_fma_f64 v[102:103], v[102:103], -0.5, v[128:129]
	v_add_f64 v[96:97], v[96:97], v[98:99]
	v_fma_f64 v[100:101], v[106:107], -0.5, v[136:137]
	v_add_f64 v[106:107], v[84:85], v[86:87]
	v_add_f64 v[92:93], v[104:105], v[92:93]
	v_fma_f64 v[86:87], v[164:165], s[12:13], v[102:103]
	s_delay_alu instid0(VALU_DEP_4) | instskip(NEXT) | instid1(VALU_DEP_2)
	v_fma_f64 v[84:85], v[160:161], s[14:15], v[100:101]
	v_fma_f64 v[86:87], v[162:163], s[8:9], v[86:87]
	s_delay_alu instid0(VALU_DEP_2) | instskip(NEXT) | instid1(VALU_DEP_2)
	v_fma_f64 v[84:85], v[158:159], s[2:3], v[84:85]
	v_fma_f64 v[86:87], v[96:97], s[16:17], v[86:87]
	s_delay_alu instid0(VALU_DEP_2) | instskip(NEXT) | instid1(VALU_DEP_1)
	v_fma_f64 v[84:85], v[92:93], s[16:17], v[84:85]
	v_mul_f64 v[88:89], v[84:85], s[14:15]
	v_mul_f64 v[84:85], v[84:85], s[16:17]
	s_delay_alu instid0(VALU_DEP_2) | instskip(NEXT) | instid1(VALU_DEP_2)
	v_fma_f64 v[88:89], v[86:87], s[16:17], v[88:89]
	v_fma_f64 v[90:91], v[86:87], s[12:13], v[84:85]
	v_fma_f64 v[84:85], v[168:169], s[12:13], v[94:95]
	v_fma_f64 v[94:95], v[168:169], s[14:15], v[94:95]
	v_fma_f64 v[86:87], v[172:173], s[14:15], v[134:135]
	s_delay_alu instid0(VALU_DEP_3) | instskip(NEXT) | instid1(VALU_DEP_3)
	v_fma_f64 v[84:85], v[166:167], s[8:9], v[84:85]
	v_fma_f64 v[94:95], v[166:167], s[2:3], v[94:95]
	s_delay_alu instid0(VALU_DEP_3) | instskip(NEXT) | instid1(VALU_DEP_3)
	v_fma_f64 v[86:87], v[170:171], s[2:3], v[86:87]
	v_fma_f64 v[98:99], v[106:107], s[16:17], v[84:85]
	s_delay_alu instid0(VALU_DEP_2) | instskip(NEXT) | instid1(VALU_DEP_2)
	v_fma_f64 v[104:105], v[108:109], s[16:17], v[86:87]
	v_add_f64 v[84:85], v[98:99], v[88:89]
	v_add_f64 v[88:89], v[98:99], -v[88:89]
	v_fma_f64 v[98:99], v[106:107], s[16:17], v[94:95]
	v_fma_f64 v[94:95], v[172:173], s[12:13], v[134:135]
	v_add_f64 v[86:87], v[104:105], v[90:91]
	v_add_f64 v[90:91], v[104:105], -v[90:91]
	v_fma_f64 v[106:107], v[162:163], s[12:13], v[154:155]
	v_add_f64 v[154:155], v[28:29], -v[56:57]
	v_fma_f64 v[94:95], v[170:171], s[8:9], v[94:95]
	s_delay_alu instid0(VALU_DEP_3) | instskip(NEXT) | instid1(VALU_DEP_2)
	v_fma_f64 v[106:107], v[164:165], s[2:3], v[106:107]
	v_fma_f64 v[104:105], v[108:109], s[16:17], v[94:95]
	;; [unrolled: 1-line block ×3, first 2 shown]
	s_delay_alu instid0(VALU_DEP_1) | instskip(NEXT) | instid1(VALU_DEP_1)
	v_fma_f64 v[94:95], v[158:159], s[8:9], v[94:95]
	v_fma_f64 v[92:93], v[92:93], s[16:17], v[94:95]
	;; [unrolled: 1-line block ×4, first 2 shown]
	v_add_f64 v[164:165], v[38:39], -v[46:47]
	v_add_f64 v[166:167], v[30:31], -v[52:53]
	s_delay_alu instid0(VALU_DEP_4) | instskip(NEXT) | instid1(VALU_DEP_4)
	v_fma_f64 v[94:95], v[162:163], s[2:3], v[94:95]
	v_fma_f64 v[102:103], v[168:169], s[2:3], v[102:103]
	v_add_f64 v[162:163], v[32:33], -v[54:55]
	v_add_f64 v[168:169], v[36:37], -v[44:45]
	s_delay_alu instid0(VALU_DEP_4) | instskip(SKIP_4) | instid1(VALU_DEP_4)
	v_fma_f64 v[94:95], v[96:97], s[16:17], v[94:95]
	v_mul_f64 v[96:97], v[92:93], s[14:15]
	v_mul_f64 v[92:93], v[92:93], s[22:23]
	v_fma_f64 v[108:109], v[146:147], s[16:17], v[102:103]
	v_fma_f64 v[102:103], v[150:151], s[16:17], v[106:107]
	;; [unrolled: 1-line block ×3, first 2 shown]
	s_delay_alu instid0(VALU_DEP_4) | instskip(NEXT) | instid1(VALU_DEP_2)
	v_fma_f64 v[100:101], v[94:95], s[12:13], v[92:93]
	v_add_f64 v[92:93], v[98:99], v[96:97]
	s_delay_alu instid0(VALU_DEP_2)
	v_add_f64 v[94:95], v[104:105], v[100:101]
	v_add_f64 v[96:97], v[98:99], -v[96:97]
	v_add_f64 v[98:99], v[104:105], -v[100:101]
	v_fma_f64 v[100:101], v[158:159], s[14:15], v[156:157]
	v_fma_f64 v[104:105], v[170:171], s[14:15], v[132:133]
	v_add_f64 v[158:159], v[34:35], -v[58:59]
	v_add_f64 v[156:157], v[40:41], -v[48:49]
	s_delay_alu instid0(VALU_DEP_4) | instskip(NEXT) | instid1(VALU_DEP_4)
	v_fma_f64 v[100:101], v[160:161], s[8:9], v[100:101]
	v_fma_f64 v[104:105], v[172:173], s[8:9], v[104:105]
	v_add_f64 v[160:161], v[42:43], -v[50:51]
	s_delay_alu instid0(VALU_DEP_3) | instskip(NEXT) | instid1(VALU_DEP_3)
	v_fma_f64 v[100:101], v[152:153], s[16:17], v[100:101]
	v_fma_f64 v[110:111], v[148:149], s[16:17], v[104:105]
	s_delay_alu instid0(VALU_DEP_2) | instskip(SKIP_1) | instid1(VALU_DEP_2)
	v_mul_f64 v[104:105], v[100:101], s[8:9]
	v_mul_f64 v[100:101], v[100:101], s[20:21]
	v_fma_f64 v[104:105], v[102:103], s[20:21], v[104:105]
	s_delay_alu instid0(VALU_DEP_2) | instskip(NEXT) | instid1(VALU_DEP_2)
	v_fma_f64 v[106:107], v[102:103], s[2:3], v[100:101]
	v_add_f64 v[100:101], v[108:109], v[104:105]
	s_delay_alu instid0(VALU_DEP_2)
	v_add_f64 v[102:103], v[110:111], v[106:107]
	v_add_f64 v[104:105], v[108:109], -v[104:105]
	v_add_f64 v[106:107], v[110:111], -v[106:107]
	ds_load_b128 v[108:111], v124 offset:3200
	s_waitcnt lgkmcnt(0)
	v_fma_f64 v[125:126], v[112:113], -0.5, v[108:109]
	v_add_f64 v[112:113], v[30:31], v[52:53]
	s_delay_alu instid0(VALU_DEP_1) | instskip(SKIP_2) | instid1(VALU_DEP_2)
	v_fma_f64 v[127:128], v[112:113], -0.5, v[108:109]
	v_add_f64 v[112:113], v[38:39], v[46:47]
	v_add_f64 v[108:109], v[108:109], v[30:31]
	v_fma_f64 v[129:130], v[112:113], -0.5, v[110:111]
	v_add_f64 v[112:113], v[32:33], v[54:55]
	s_delay_alu instid0(VALU_DEP_3) | instskip(NEXT) | instid1(VALU_DEP_2)
	v_add_f64 v[108:109], v[108:109], v[36:37]
	v_fma_f64 v[131:132], v[112:113], -0.5, v[110:111]
	v_add_f64 v[110:111], v[110:111], v[32:33]
	v_add_f64 v[112:113], v[24:25], v[28:29]
	s_delay_alu instid0(VALU_DEP_4) | instskip(NEXT) | instid1(VALU_DEP_3)
	v_add_f64 v[108:109], v[108:109], v[44:45]
	v_add_f64 v[110:111], v[110:111], v[38:39]
	s_delay_alu instid0(VALU_DEP_3) | instskip(NEXT) | instid1(VALU_DEP_3)
	v_add_f64 v[112:113], v[112:113], v[40:41]
	v_add_f64 v[116:117], v[108:109], v[52:53]
	s_delay_alu instid0(VALU_DEP_3) | instskip(NEXT) | instid1(VALU_DEP_3)
	v_add_f64 v[110:111], v[110:111], v[46:47]
	v_add_f64 v[112:113], v[112:113], v[48:49]
	s_delay_alu instid0(VALU_DEP_2) | instskip(NEXT) | instid1(VALU_DEP_2)
	v_add_f64 v[118:119], v[110:111], v[54:55]
	v_add_f64 v[112:113], v[112:113], v[56:57]
	s_delay_alu instid0(VALU_DEP_2) | instskip(NEXT) | instid1(VALU_DEP_2)
	v_add_f64 v[110:111], v[118:119], v[114:115]
	v_add_f64 v[108:109], v[116:117], v[112:113]
	v_add_f64 v[112:113], v[116:117], -v[112:113]
	v_add_f64 v[114:115], v[118:119], -v[114:115]
	;; [unrolled: 1-line block ×7, first 2 shown]
	s_delay_alu instid0(VALU_DEP_4)
	v_add_f64 v[133:134], v[116:117], v[118:119]
	v_add_f64 v[116:117], v[32:33], -v[38:39]
	v_add_f64 v[118:119], v[54:55], -v[46:47]
	v_add_f64 v[32:33], v[38:39], -v[32:33]
	v_add_f64 v[38:39], v[46:47], -v[54:55]
	v_add_f64 v[46:47], v[48:49], -v[56:57]
	v_add_f64 v[36:37], v[30:31], v[36:37]
	v_add_f64 v[135:136], v[116:117], v[118:119]
	v_add_f64 v[116:117], v[28:29], -v[40:41]
	v_add_f64 v[118:119], v[56:57], -v[48:49]
	v_add_f64 v[32:33], v[32:33], v[38:39]
	s_delay_alu instid0(VALU_DEP_2) | instskip(SKIP_2) | instid1(VALU_DEP_1)
	v_add_f64 v[146:147], v[116:117], v[118:119]
	v_add_f64 v[116:117], v[34:35], -v[42:43]
	v_add_f64 v[118:119], v[58:59], -v[50:51]
	v_add_f64 v[148:149], v[116:117], v[118:119]
	v_add_f64 v[116:117], v[40:41], v[48:49]
	v_add_f64 v[40:41], v[40:41], -v[28:29]
	v_add_f64 v[28:29], v[28:29], v[56:57]
	s_delay_alu instid0(VALU_DEP_3)
	v_fma_f64 v[150:151], v[116:117], -0.5, v[24:25]
	v_add_f64 v[116:117], v[42:43], v[50:51]
	v_add_f64 v[42:43], v[42:43], -v[34:35]
	v_add_f64 v[34:35], v[34:35], v[58:59]
	v_fma_f64 v[38:39], v[28:29], -0.5, v[24:25]
	v_add_f64 v[40:41], v[40:41], v[46:47]
	v_fma_f64 v[118:119], v[158:159], s[14:15], v[150:151]
	v_fma_f64 v[152:153], v[116:117], -0.5, v[26:27]
	v_add_f64 v[42:43], v[42:43], v[44:45]
	v_fma_f64 v[34:35], v[34:35], -0.5, v[26:27]
	v_fma_f64 v[26:27], v[160:161], s[12:13], v[38:39]
	v_fma_f64 v[118:119], v[160:161], s[8:9], v[118:119]
	;; [unrolled: 1-line block ×3, first 2 shown]
	s_delay_alu instid0(VALU_DEP_4) | instskip(NEXT) | instid1(VALU_DEP_4)
	v_fma_f64 v[24:25], v[156:157], s[14:15], v[34:35]
	v_fma_f64 v[26:27], v[158:159], s[8:9], v[26:27]
	;; [unrolled: 1-line block ×8, first 2 shown]
	s_delay_alu instid0(VALU_DEP_4) | instskip(NEXT) | instid1(VALU_DEP_4)
	v_fma_f64 v[116:117], v[148:149], s[16:17], v[116:117]
	v_fma_f64 v[24:25], v[42:43], s[16:17], v[24:25]
	s_delay_alu instid0(VALU_DEP_3) | instskip(SKIP_1) | instid1(VALU_DEP_4)
	v_fma_f64 v[34:35], v[42:43], s[16:17], v[34:35]
	v_fma_f64 v[42:43], v[164:165], s[14:15], v[127:128]
	v_mul_f64 v[120:121], v[116:117], s[8:9]
	v_mul_f64 v[116:117], v[116:117], s[18:19]
	;; [unrolled: 1-line block ×4, first 2 shown]
	v_fma_f64 v[42:43], v[162:163], s[2:3], v[42:43]
	v_fma_f64 v[120:121], v[118:119], s[18:19], v[120:121]
	;; [unrolled: 1-line block ×9, first 2 shown]
	s_delay_alu instid0(VALU_DEP_4) | instskip(NEXT) | instid1(VALU_DEP_4)
	v_fma_f64 v[24:25], v[162:163], s[8:9], v[24:25]
	v_fma_f64 v[26:27], v[166:167], s[2:3], v[26:27]
	s_delay_alu instid0(VALU_DEP_4) | instskip(NEXT) | instid1(VALU_DEP_4)
	v_fma_f64 v[116:117], v[164:165], s[8:9], v[116:117]
	v_fma_f64 v[118:119], v[168:169], s[2:3], v[118:119]
	s_delay_alu instid0(VALU_DEP_4)
	v_fma_f64 v[44:45], v[36:37], s[16:17], v[24:25]
	v_fma_f64 v[36:37], v[36:37], s[16:17], v[42:43]
	;; [unrolled: 1-line block ×6, first 2 shown]
	v_add_f64 v[24:25], v[44:45], v[28:29]
	v_add_f64 v[28:29], v[44:45], -v[28:29]
	v_fma_f64 v[42:43], v[166:167], s[8:9], v[42:43]
	v_add_f64 v[26:27], v[46:47], v[30:31]
	v_add_f64 v[30:31], v[46:47], -v[30:31]
	v_fma_f64 v[44:45], v[166:167], s[14:15], v[129:130]
	v_fma_f64 v[46:47], v[158:159], s[12:13], v[150:151]
	v_add_f64 v[116:117], v[170:171], v[120:121]
	v_add_f64 v[118:119], v[172:173], v[122:123]
	v_add_f64 v[120:121], v[170:171], -v[120:121]
	v_add_f64 v[122:123], v[172:173], -v[122:123]
	v_fma_f64 v[42:43], v[32:33], s[16:17], v[42:43]
	v_fma_f64 v[32:33], v[160:161], s[14:15], v[38:39]
	v_mul_f64 v[38:39], v[34:35], s[14:15]
	v_mul_f64 v[34:35], v[34:35], s[22:23]
	v_fma_f64 v[44:45], v[168:169], s[8:9], v[44:45]
	v_fma_f64 v[46:47], v[160:161], s[2:3], v[46:47]
	;; [unrolled: 1-line block ×3, first 2 shown]
	s_delay_alu instid0(VALU_DEP_3) | instskip(NEXT) | instid1(VALU_DEP_2)
	v_fma_f64 v[50:51], v[135:136], s[16:17], v[44:45]
	v_fma_f64 v[32:33], v[40:41], s[16:17], v[32:33]
	s_delay_alu instid0(VALU_DEP_1) | instskip(SKIP_1) | instid1(VALU_DEP_2)
	v_fma_f64 v[38:39], v[32:33], s[22:23], v[38:39]
	v_fma_f64 v[40:41], v[32:33], s[12:13], v[34:35]
	v_add_f64 v[32:33], v[36:37], v[38:39]
	s_delay_alu instid0(VALU_DEP_2) | instskip(SKIP_4) | instid1(VALU_DEP_2)
	v_add_f64 v[34:35], v[42:43], v[40:41]
	v_add_f64 v[36:37], v[36:37], -v[38:39]
	v_add_f64 v[38:39], v[42:43], -v[40:41]
	v_fma_f64 v[40:41], v[154:155], s[14:15], v[152:153]
	v_fma_f64 v[42:43], v[162:163], s[12:13], v[125:126]
	;; [unrolled: 1-line block ×3, first 2 shown]
	s_delay_alu instid0(VALU_DEP_2) | instskip(NEXT) | instid1(VALU_DEP_2)
	v_fma_f64 v[42:43], v[164:165], s[2:3], v[42:43]
	v_fma_f64 v[40:41], v[148:149], s[16:17], v[40:41]
	s_delay_alu instid0(VALU_DEP_2) | instskip(SKIP_1) | instid1(VALU_DEP_3)
	v_fma_f64 v[48:49], v[133:134], s[16:17], v[42:43]
	v_fma_f64 v[42:43], v[146:147], s[16:17], v[46:47]
	v_mul_f64 v[44:45], v[40:41], s[8:9]
	v_mul_f64 v[40:41], v[40:41], s[20:21]
	s_delay_alu instid0(VALU_DEP_2) | instskip(NEXT) | instid1(VALU_DEP_2)
	v_fma_f64 v[44:45], v[42:43], s[20:21], v[44:45]
	v_fma_f64 v[46:47], v[42:43], s[2:3], v[40:41]
	s_mul_i32 s2, s5, 0x12c0
	s_mul_hi_u32 s3, s4, 0x12c0
	s_delay_alu instid0(SALU_CYCLE_1) | instskip(SKIP_1) | instid1(VALU_DEP_2)
	s_add_i32 s3, s3, s2
	s_mul_i32 s2, s4, 0x12c0
	v_add_f64 v[40:41], v[48:49], v[44:45]
	s_delay_alu instid0(VALU_DEP_2)
	v_add_f64 v[42:43], v[50:51], v[46:47]
	v_add_f64 v[44:45], v[48:49], -v[44:45]
	v_add_f64 v[46:47], v[50:51], -v[46:47]
	ds_store_b128 v124, v[4:7]
	ds_store_b128 v124, v[12:15] offset:4800
	ds_store_b128 v124, v[20:23] offset:9600
	;; [unrolled: 1-line block ×29, first 2 shown]
	s_waitcnt lgkmcnt(0)
	s_barrier
	buffer_gl0_inv
	s_clause 0x7
	scratch_load_b128 v[6:9], off, off offset:440
	scratch_load_b128 v[26:29], off, off offset:456
	;; [unrolled: 1-line block ×8, first 2 shown]
	ds_load_b128 v[0:3], v124
	s_clause 0xe
	scratch_load_b128 v[22:25], off, off offset:472
	scratch_load_b128 v[30:33], off, off offset:392
	;; [unrolled: 1-line block ×15, first 2 shown]
	v_mov_b32_e32 v98, v187
	s_waitcnt vmcnt(22) lgkmcnt(0)
	v_mul_f64 v[4:5], v[8:9], v[2:3]
	s_delay_alu instid0(VALU_DEP_1) | instskip(SKIP_1) | instid1(VALU_DEP_1)
	v_fma_f64 v[4:5], v[6:7], v[0:1], v[4:5]
	v_mul_f64 v[0:1], v[8:9], v[0:1]
	v_fma_f64 v[6:7], v[6:7], v[2:3], -v[0:1]
	ds_load_b128 v[0:3], v124 offset:4800
	s_waitcnt vmcnt(20) lgkmcnt(0)
	v_mul_f64 v[8:9], v[12:13], v[2:3]
	s_delay_alu instid0(VALU_DEP_1) | instskip(SKIP_1) | instid1(VALU_DEP_1)
	v_fma_f64 v[8:9], v[10:11], v[0:1], v[8:9]
	v_mul_f64 v[0:1], v[12:13], v[0:1]
	v_fma_f64 v[10:11], v[10:11], v[2:3], -v[0:1]
	ds_load_b128 v[0:3], v124 offset:9600
	s_waitcnt vmcnt(18) lgkmcnt(0)
	v_mul_f64 v[12:13], v[16:17], v[2:3]
	s_delay_alu instid0(VALU_DEP_1) | instskip(SKIP_1) | instid1(VALU_DEP_1)
	v_fma_f64 v[12:13], v[14:15], v[0:1], v[12:13]
	v_mul_f64 v[0:1], v[16:17], v[0:1]
	v_fma_f64 v[14:15], v[14:15], v[2:3], -v[0:1]
	ds_load_b128 v[0:3], v124 offset:14400
	s_waitcnt vmcnt(16) lgkmcnt(0)
	v_mul_f64 v[16:17], v[20:21], v[2:3]
	s_delay_alu instid0(VALU_DEP_1) | instskip(SKIP_1) | instid1(VALU_DEP_1)
	v_fma_f64 v[16:17], v[18:19], v[0:1], v[16:17]
	v_mul_f64 v[0:1], v[20:21], v[0:1]
	v_fma_f64 v[18:19], v[18:19], v[2:3], -v[0:1]
	ds_load_b128 v[0:3], v124 offset:19200
	s_waitcnt vmcnt(14) lgkmcnt(0)
	v_mul_f64 v[20:21], v[24:25], v[2:3]
	s_delay_alu instid0(VALU_DEP_1) | instskip(SKIP_1) | instid1(VALU_DEP_1)
	v_fma_f64 v[20:21], v[22:23], v[0:1], v[20:21]
	v_mul_f64 v[0:1], v[24:25], v[0:1]
	v_fma_f64 v[22:23], v[22:23], v[2:3], -v[0:1]
	ds_load_b128 v[0:3], v124 offset:24000
	s_waitcnt lgkmcnt(0)
	v_mul_f64 v[24:25], v[28:29], v[2:3]
	s_delay_alu instid0(VALU_DEP_1) | instskip(SKIP_1) | instid1(VALU_DEP_1)
	v_fma_f64 v[24:25], v[26:27], v[0:1], v[24:25]
	v_mul_f64 v[0:1], v[28:29], v[0:1]
	v_fma_f64 v[26:27], v[26:27], v[2:3], -v[0:1]
	ds_load_b128 v[0:3], v124 offset:28800
	s_waitcnt vmcnt(13) lgkmcnt(0)
	v_mul_f64 v[28:29], v[32:33], v[2:3]
	s_delay_alu instid0(VALU_DEP_1) | instskip(SKIP_1) | instid1(VALU_DEP_1)
	v_fma_f64 v[28:29], v[30:31], v[0:1], v[28:29]
	v_mul_f64 v[0:1], v[32:33], v[0:1]
	v_fma_f64 v[30:31], v[30:31], v[2:3], -v[0:1]
	ds_load_b128 v[0:3], v124 offset:33600
	s_waitcnt vmcnt(11) lgkmcnt(0)
	;; [unrolled: 7-line block ×4, first 2 shown]
	v_mul_f64 v[40:41], v[44:45], v[2:3]
	s_delay_alu instid0(VALU_DEP_1) | instskip(SKIP_1) | instid1(VALU_DEP_1)
	v_fma_f64 v[40:41], v[42:43], v[0:1], v[40:41]
	v_mul_f64 v[0:1], v[44:45], v[0:1]
	v_fma_f64 v[42:43], v[42:43], v[2:3], -v[0:1]
	ds_load_b128 v[0:3], v124 offset:1600
	s_waitcnt lgkmcnt(0)
	v_mul_f64 v[44:45], v[48:49], v[2:3]
	s_delay_alu instid0(VALU_DEP_1) | instskip(SKIP_1) | instid1(VALU_DEP_1)
	v_fma_f64 v[44:45], v[46:47], v[0:1], v[44:45]
	v_mul_f64 v[0:1], v[48:49], v[0:1]
	v_fma_f64 v[46:47], v[46:47], v[2:3], -v[0:1]
	ds_load_b128 v[0:3], v124 offset:6400
	s_waitcnt lgkmcnt(0)
	;; [unrolled: 7-line block ×5, first 2 shown]
	v_mul_f64 v[60:61], v[64:65], v[2:3]
	s_delay_alu instid0(VALU_DEP_1) | instskip(SKIP_1) | instid1(VALU_DEP_1)
	v_fma_f64 v[60:61], v[62:63], v[0:1], v[60:61]
	v_mul_f64 v[0:1], v[64:65], v[0:1]
	v_fma_f64 v[62:63], v[62:63], v[2:3], -v[0:1]
	ds_load_b128 v[0:3], v124 offset:25600
	s_waitcnt vmcnt(7) lgkmcnt(0)
	v_mul_f64 v[64:65], v[68:69], v[2:3]
	s_delay_alu instid0(VALU_DEP_1) | instskip(SKIP_1) | instid1(VALU_DEP_1)
	v_fma_f64 v[64:65], v[66:67], v[0:1], v[64:65]
	v_mul_f64 v[0:1], v[68:69], v[0:1]
	v_fma_f64 v[66:67], v[66:67], v[2:3], -v[0:1]
	ds_load_b128 v[0:3], v124 offset:30400
	s_waitcnt vmcnt(5) lgkmcnt(0)
	v_mul_f64 v[68:69], v[72:73], v[2:3]
	s_delay_alu instid0(VALU_DEP_1) | instskip(SKIP_1) | instid1(VALU_DEP_1)
	v_fma_f64 v[68:69], v[70:71], v[0:1], v[68:69]
	v_mul_f64 v[0:1], v[72:73], v[0:1]
	v_fma_f64 v[70:71], v[70:71], v[2:3], -v[0:1]
	ds_load_b128 v[0:3], v124 offset:35200
	s_waitcnt lgkmcnt(0)
	v_mul_f64 v[72:73], v[76:77], v[2:3]
	s_delay_alu instid0(VALU_DEP_1) | instskip(SKIP_1) | instid1(VALU_DEP_1)
	v_fma_f64 v[72:73], v[74:75], v[0:1], v[72:73]
	v_mul_f64 v[0:1], v[76:77], v[0:1]
	v_fma_f64 v[74:75], v[74:75], v[2:3], -v[0:1]
	ds_load_b128 v[0:3], v124 offset:40000
	s_waitcnt vmcnt(3) lgkmcnt(0)
	v_mul_f64 v[76:77], v[80:81], v[2:3]
	s_delay_alu instid0(VALU_DEP_1) | instskip(SKIP_1) | instid1(VALU_DEP_1)
	v_fma_f64 v[76:77], v[78:79], v[0:1], v[76:77]
	v_mul_f64 v[0:1], v[80:81], v[0:1]
	v_fma_f64 v[78:79], v[78:79], v[2:3], -v[0:1]
	ds_load_b128 v[0:3], v124 offset:44800
	s_waitcnt lgkmcnt(0)
	v_mul_f64 v[80:81], v[84:85], v[2:3]
	s_delay_alu instid0(VALU_DEP_1) | instskip(SKIP_1) | instid1(VALU_DEP_1)
	v_fma_f64 v[80:81], v[82:83], v[0:1], v[80:81]
	v_mul_f64 v[0:1], v[84:85], v[0:1]
	v_fma_f64 v[82:83], v[82:83], v[2:3], -v[0:1]
	ds_load_b128 v[0:3], v124 offset:3200
	s_waitcnt vmcnt(1) lgkmcnt(0)
	v_mul_f64 v[84:85], v[88:89], v[2:3]
	s_delay_alu instid0(VALU_DEP_1) | instskip(SKIP_1) | instid1(VALU_DEP_1)
	v_fma_f64 v[84:85], v[86:87], v[0:1], v[84:85]
	v_mul_f64 v[0:1], v[88:89], v[0:1]
	v_fma_f64 v[86:87], v[86:87], v[2:3], -v[0:1]
	ds_load_b128 v[0:3], v124 offset:8000
	s_waitcnt vmcnt(0) lgkmcnt(0)
	v_mul_f64 v[88:89], v[92:93], v[2:3]
	s_delay_alu instid0(VALU_DEP_1) | instskip(SKIP_1) | instid1(VALU_DEP_1)
	v_fma_f64 v[88:89], v[90:91], v[0:1], v[88:89]
	v_mul_f64 v[0:1], v[92:93], v[0:1]
	v_fma_f64 v[90:91], v[90:91], v[2:3], -v[0:1]
	ds_load_b128 v[0:3], v124 offset:12800
	s_waitcnt lgkmcnt(0)
	v_mul_f64 v[92:93], v[96:97], v[2:3]
	s_delay_alu instid0(VALU_DEP_1)
	v_fma_f64 v[92:93], v[94:95], v[0:1], v[92:93]
	v_mul_f64 v[0:1], v[96:97], v[0:1]
	scratch_load_b64 v[96:97], off, off     ; 8-byte Folded Reload
	v_fma_f64 v[94:95], v[94:95], v[2:3], -v[0:1]
	s_waitcnt vmcnt(0)
	v_mad_u64_u32 v[0:1], null, s6, v96, 0
	s_delay_alu instid0(VALU_DEP_1) | instskip(NEXT) | instid1(VALU_DEP_1)
	v_mad_u64_u32 v[2:3], null, s7, v96, v[1:2]
	v_mov_b32_e32 v1, v2
	v_mad_u64_u32 v[2:3], null, s4, v98, 0
	s_delay_alu instid0(VALU_DEP_2) | instskip(NEXT) | instid1(VALU_DEP_2)
	v_lshlrev_b64 v[0:1], 4, v[0:1]
	v_mad_u64_u32 v[96:97], null, s5, v98, v[3:4]
	s_mul_i32 s5, s5, 0xffff5d80
	s_delay_alu instid0(SALU_CYCLE_1) | instskip(NEXT) | instid1(VALU_DEP_1)
	s_sub_i32 s5, s5, s4
	v_mov_b32_e32 v3, v96
	s_delay_alu instid0(VALU_DEP_3) | instskip(SKIP_1) | instid1(VALU_DEP_3)
	v_add_co_u32 v96, vcc_lo, s0, v0
	v_add_co_ci_u32_e32 v97, vcc_lo, s1, v1, vcc_lo
	v_lshlrev_b64 v[0:1], 4, v[2:3]
	s_mov_b32 s0, 0xc3ece2a5
	s_mov_b32 s1, 0x3f35d867
	s_delay_alu instid0(SALU_CYCLE_1) | instskip(SKIP_1) | instid1(VALU_DEP_3)
	v_mul_f64 v[2:3], v[6:7], s[0:1]
	v_mul_f64 v[6:7], v[26:27], s[0:1]
	v_add_co_u32 v96, vcc_lo, v96, v0
	v_add_co_ci_u32_e32 v97, vcc_lo, v97, v1, vcc_lo
	v_mul_f64 v[0:1], v[4:5], s[0:1]
	s_delay_alu instid0(VALU_DEP_3) | instskip(NEXT) | instid1(VALU_DEP_3)
	v_add_co_u32 v4, vcc_lo, v96, s2
	v_add_co_ci_u32_e32 v5, vcc_lo, s3, v97, vcc_lo
	v_mul_f64 v[26:27], v[50:51], s[0:1]
	global_store_b128 v[96:97], v[0:3], off
	v_mul_f64 v[0:1], v[8:9], s[0:1]
	v_mul_f64 v[2:3], v[10:11], s[0:1]
	;; [unrolled: 1-line block ×4, first 2 shown]
	global_store_b128 v[4:5], v[0:3], off
	v_mul_f64 v[0:1], v[12:13], s[0:1]
	v_mul_f64 v[2:3], v[14:15], s[0:1]
	v_add_co_u32 v4, vcc_lo, v4, s2
	v_add_co_ci_u32_e32 v5, vcc_lo, s3, v5, vcc_lo
	v_mul_f64 v[12:13], v[32:33], s[0:1]
	s_delay_alu instid0(VALU_DEP_3) | instskip(NEXT) | instid1(VALU_DEP_3)
	v_add_co_u32 v8, vcc_lo, v4, s2
	v_add_co_ci_u32_e32 v9, vcc_lo, s3, v5, vcc_lo
	v_mul_f64 v[14:15], v[34:35], s[0:1]
	global_store_b128 v[4:5], v[0:3], off
	v_mul_f64 v[0:1], v[16:17], s[0:1]
	v_mul_f64 v[2:3], v[18:19], s[0:1]
	;; [unrolled: 1-line block ×3, first 2 shown]
	v_add_co_u32 v16, vcc_lo, v8, s2
	v_add_co_ci_u32_e32 v17, vcc_lo, s3, v9, vcc_lo
	v_mul_f64 v[18:19], v[38:39], s[0:1]
	global_store_b128 v[8:9], v[0:3], off
	v_mul_f64 v[0:1], v[20:21], s[0:1]
	v_mul_f64 v[2:3], v[22:23], s[0:1]
	v_add_co_u32 v20, vcc_lo, v16, s2
	v_add_co_ci_u32_e32 v21, vcc_lo, s3, v17, vcc_lo
	v_mul_f64 v[8:9], v[28:29], s[0:1]
	s_delay_alu instid0(VALU_DEP_3) | instskip(NEXT) | instid1(VALU_DEP_3)
	v_add_co_u32 v24, vcc_lo, v20, s2
	v_add_co_ci_u32_e32 v25, vcc_lo, s3, v21, vcc_lo
	v_mul_f64 v[22:23], v[46:47], s[0:1]
	s_delay_alu instid0(VALU_DEP_3) | instskip(NEXT) | instid1(VALU_DEP_3)
	v_add_co_u32 v28, vcc_lo, v24, s2
	v_add_co_ci_u32_e32 v29, vcc_lo, s3, v25, vcc_lo
	global_store_b128 v[16:17], v[0:3], off
	global_store_b128 v[20:21], v[4:7], off
	scratch_load_b128 v[4:7], off, off offset:72 ; 16-byte Folded Reload
	ds_load_b128 v[0:3], v124 offset:17600
	v_mul_f64 v[20:21], v[44:45], s[0:1]
	v_mul_f64 v[16:17], v[36:37], s[0:1]
	global_store_b128 v[24:25], v[8:11], off
	ds_load_b128 v[8:11], v124 offset:22400
	v_mul_f64 v[24:25], v[48:49], s[0:1]
	v_add_co_u32 v36, vcc_lo, v28, s2
	v_add_co_ci_u32_e32 v37, vcc_lo, s3, v29, vcc_lo
	global_store_b128 v[28:29], v[12:15], off
	v_add_co_u32 v38, vcc_lo, v36, s2
	v_mul_f64 v[28:29], v[52:53], s[0:1]
	v_add_co_ci_u32_e32 v39, vcc_lo, s3, v37, vcc_lo
	scratch_load_b128 v[48:51], off, off offset:40 ; 16-byte Folded Reload
	ds_load_b128 v[12:15], v124 offset:27200
	global_store_b128 v[36:37], v[16:19], off
	v_mad_u64_u32 v[16:17], null, 0xffff5d80, s4, v[38:39]
	s_delay_alu instid0(VALU_DEP_1)
	v_add_nc_u32_e32 v17, s5, v17
	s_waitcnt vmcnt(1) lgkmcnt(2)
	v_mul_f64 v[32:33], v[6:7], v[2:3]
	v_mul_f64 v[34:35], v[6:7], v[0:1]
	;; [unrolled: 1-line block ×3, first 2 shown]
	scratch_load_b128 v[42:45], off, off offset:24 ; 16-byte Folded Reload
	v_dual_mov_b32 v99, v5 :: v_dual_mov_b32 v98, v4
	v_mul_f64 v[4:5], v[40:41], s[0:1]
	s_waitcnt vmcnt(1) lgkmcnt(0)
	v_mul_f64 v[46:47], v[50:51], v[12:13]
	global_store_b128 v[38:39], v[4:7], off
	global_store_b128 v[16:17], v[20:23], off
	v_mul_f64 v[22:23], v[58:59], s[0:1]
	ds_load_b128 v[4:7], v124 offset:36800
	v_mul_f64 v[20:21], v[56:57], s[0:1]
	v_mul_f64 v[38:39], v[78:79], s[0:1]
	s_waitcnt vmcnt(0)
	v_mul_f64 v[36:37], v[44:45], v[10:11]
	v_mul_f64 v[40:41], v[44:45], v[8:9]
	v_dual_mov_b32 v97, v43 :: v_dual_mov_b32 v96, v42
	v_fma_f64 v[42:43], v[98:99], v[0:1], v[32:33]
	v_add_co_u32 v32, vcc_lo, v16, s2
	v_add_co_ci_u32_e32 v33, vcc_lo, s3, v17, vcc_lo
	ds_load_b128 v[16:19], v124 offset:32000
	v_fma_f64 v[44:45], v[98:99], v[2:3], -v[34:35]
	v_mul_f64 v[34:35], v[50:51], v[14:15]
	global_store_b128 v[32:33], v[24:27], off
	v_add_co_u32 v32, vcc_lo, v32, s2
	v_add_co_ci_u32_e32 v33, vcc_lo, s3, v33, vcc_lo
	ds_load_b128 v[24:27], v124 offset:41600
	ds_load_b128 v[0:3], v124 offset:46400
	v_mov_b32_e32 v99, v49
	global_store_b128 v[32:33], v[28:31], off
	v_mul_f64 v[28:29], v[60:61], s[0:1]
	scratch_load_b128 v[58:61], off, off offset:8 ; 16-byte Folded Reload
	v_mul_f64 v[30:31], v[62:63], s[0:1]
	v_mov_b32_e32 v98, v48
	v_add_co_u32 v48, vcc_lo, v32, s2
	v_add_co_ci_u32_e32 v49, vcc_lo, s3, v33, vcc_lo
	v_mul_f64 v[32:33], v[64:65], s[0:1]
	s_delay_alu instid0(VALU_DEP_4) | instskip(NEXT) | instid1(VALU_DEP_4)
	v_fma_f64 v[46:47], v[98:99], v[14:15], -v[46:47]
	v_add_co_u32 v50, vcc_lo, v48, s2
	s_delay_alu instid0(VALU_DEP_4)
	v_add_co_ci_u32_e32 v51, vcc_lo, s3, v49, vcc_lo
	v_mul_f64 v[14:15], v[74:75], s[0:1]
	global_store_b128 v[48:49], v[20:23], off
	v_fma_f64 v[54:55], v[96:97], v[8:9], v[36:37]
	v_fma_f64 v[40:41], v[96:97], v[10:11], -v[40:41]
	scratch_load_b128 v[8:11], off, off offset:56 ; 16-byte Folded Reload
	v_mul_f64 v[36:37], v[76:77], s[0:1]
	v_fma_f64 v[64:65], v[98:99], v[12:13], v[34:35]
	v_mul_f64 v[34:35], v[66:67], s[0:1]
	v_mul_f64 v[12:13], v[72:73], s[0:1]
	v_add_co_u32 v66, vcc_lo, v50, s2
	v_add_co_ci_u32_e32 v67, vcc_lo, s3, v51, vcc_lo
	global_store_b128 v[50:51], v[28:31], off
	s_waitcnt vmcnt(1)
	v_mov_b32_e32 v103, v59
	s_waitcnt lgkmcnt(2)
	v_mul_f64 v[52:53], v[60:61], v[18:19]
	v_mul_f64 v[56:57], v[60:61], v[16:17]
	s_waitcnt vmcnt(0)
	v_dual_mov_b32 v102, v58 :: v_dual_mov_b32 v105, v9
	v_mul_f64 v[58:59], v[10:11], v[6:7]
	v_mul_f64 v[60:61], v[10:11], v[4:5]
	v_mov_b32_e32 v104, v8
	scratch_load_b128 v[8:11], off, off offset:88 ; 16-byte Folded Reload
	v_fma_f64 v[52:53], v[102:103], v[16:17], v[52:53]
	v_fma_f64 v[56:57], v[102:103], v[18:19], -v[56:57]
	v_mul_f64 v[16:17], v[42:43], s[0:1]
	v_mul_f64 v[18:19], v[44:45], s[0:1]
	v_fma_f64 v[58:59], v[104:105], v[4:5], v[58:59]
	v_fma_f64 v[60:61], v[104:105], v[6:7], -v[60:61]
	v_mul_f64 v[4:5], v[84:85], s[0:1]
	v_mul_f64 v[6:7], v[86:87], s[0:1]
	;; [unrolled: 1-line block ×4, first 2 shown]
	s_waitcnt vmcnt(0)
	v_mov_b32_e32 v107, v9
	s_waitcnt lgkmcnt(1)
	v_mul_f64 v[62:63], v[10:11], v[26:27]
	v_mul_f64 v[96:97], v[10:11], v[24:25]
	v_mov_b32_e32 v106, v8
	scratch_load_b128 v[8:11], off, off offset:104 ; 16-byte Folded Reload
	v_fma_f64 v[62:63], v[106:107], v[24:25], v[62:63]
	v_mul_f64 v[24:25], v[64:65], s[0:1]
	s_waitcnt vmcnt(0) lgkmcnt(0)
	v_mul_f64 v[98:99], v[10:11], v[2:3]
	v_mul_f64 v[100:101], v[10:11], v[0:1]
	v_dual_mov_b32 v109, v9 :: v_dual_mov_b32 v108, v8
	v_mul_f64 v[8:9], v[68:69], s[0:1]
	v_mul_f64 v[10:11], v[70:71], s[0:1]
	v_add_co_u32 v68, vcc_lo, v66, s2
	v_add_co_ci_u32_e32 v69, vcc_lo, s3, v67, vcc_lo
	v_fma_f64 v[70:71], v[106:107], v[26:27], -v[96:97]
	s_delay_alu instid0(VALU_DEP_3) | instskip(NEXT) | instid1(VALU_DEP_3)
	v_add_co_u32 v20, vcc_lo, v68, s2
	v_add_co_ci_u32_e32 v21, vcc_lo, s3, v69, vcc_lo
	global_store_b128 v[66:67], v[32:35], off
	global_store_b128 v[68:69], v[8:11], off
	;; [unrolled: 1-line block ×3, first 2 shown]
	v_fma_f64 v[72:73], v[108:109], v[0:1], v[98:99]
	v_fma_f64 v[74:75], v[108:109], v[2:3], -v[100:101]
	v_add_co_u32 v22, vcc_lo, v20, s2
	v_mul_f64 v[0:1], v[80:81], s[0:1]
	v_mul_f64 v[2:3], v[82:83], s[0:1]
	v_add_co_ci_u32_e32 v23, vcc_lo, s3, v21, vcc_lo
	s_delay_alu instid0(VALU_DEP_4) | instskip(SKIP_1) | instid1(VALU_DEP_3)
	v_add_co_u32 v48, vcc_lo, v22, s2
	v_mul_f64 v[8:9], v[88:89], s[0:1]
	v_add_co_ci_u32_e32 v49, vcc_lo, s3, v23, vcc_lo
	v_mul_f64 v[10:11], v[90:91], s[0:1]
	global_store_b128 v[22:23], v[36:39], off
	v_mul_f64 v[12:13], v[92:93], s[0:1]
	v_mad_u64_u32 v[50:51], null, 0xffff5d80, s4, v[48:49]
	v_mul_f64 v[14:15], v[94:95], s[0:1]
	v_mul_f64 v[20:21], v[54:55], s[0:1]
	;; [unrolled: 1-line block ×6, first 2 shown]
	v_add_nc_u32_e32 v51, s5, v51
	v_add_co_u32 v66, vcc_lo, v50, s2
	v_mul_f64 v[36:37], v[62:63], s[0:1]
	v_mul_f64 v[38:39], v[70:71], s[0:1]
	s_delay_alu instid0(VALU_DEP_4) | instskip(NEXT) | instid1(VALU_DEP_4)
	v_add_co_ci_u32_e32 v67, vcc_lo, s3, v51, vcc_lo
	v_add_co_u32 v44, vcc_lo, v66, s2
	s_delay_alu instid0(VALU_DEP_2) | instskip(NEXT) | instid1(VALU_DEP_2)
	v_add_co_ci_u32_e32 v45, vcc_lo, s3, v67, vcc_lo
	v_add_co_u32 v46, vcc_lo, v44, s2
	v_mul_f64 v[40:41], v[72:73], s[0:1]
	v_mul_f64 v[42:43], v[74:75], s[0:1]
	s_delay_alu instid0(VALU_DEP_4)
	v_add_co_ci_u32_e32 v47, vcc_lo, s3, v45, vcc_lo
	global_store_b128 v[48:49], v[0:3], off
	v_add_co_u32 v0, vcc_lo, v46, s2
	v_add_co_ci_u32_e32 v1, vcc_lo, s3, v47, vcc_lo
	global_store_b128 v[50:51], v[4:7], off
	v_add_co_u32 v2, vcc_lo, v0, s2
	;; [unrolled: 3-line block ×6, first 2 shown]
	v_add_co_ci_u32_e32 v1, vcc_lo, s3, v9, vcc_lo
	global_store_b128 v[2:3], v[24:27], off
	global_store_b128 v[4:5], v[28:31], off
	;; [unrolled: 1-line block ×5, first 2 shown]
.LBB0_2:
	s_nop 0
	s_sendmsg sendmsg(MSG_DEALLOC_VGPRS)
	s_endpgm
	.section	.rodata,"a",@progbits
	.p2align	6, 0x0
	.amdhsa_kernel bluestein_single_back_len3000_dim1_dp_op_CI_CI
		.amdhsa_group_segment_fixed_size 48000
		.amdhsa_private_segment_fixed_size 1528
		.amdhsa_kernarg_size 104
		.amdhsa_user_sgpr_count 15
		.amdhsa_user_sgpr_dispatch_ptr 0
		.amdhsa_user_sgpr_queue_ptr 0
		.amdhsa_user_sgpr_kernarg_segment_ptr 1
		.amdhsa_user_sgpr_dispatch_id 0
		.amdhsa_user_sgpr_private_segment_size 0
		.amdhsa_wavefront_size32 1
		.amdhsa_uses_dynamic_stack 0
		.amdhsa_enable_private_segment 1
		.amdhsa_system_sgpr_workgroup_id_x 1
		.amdhsa_system_sgpr_workgroup_id_y 0
		.amdhsa_system_sgpr_workgroup_id_z 0
		.amdhsa_system_sgpr_workgroup_info 0
		.amdhsa_system_vgpr_workitem_id 0
		.amdhsa_next_free_vgpr 256
		.amdhsa_next_free_sgpr 29
		.amdhsa_reserve_vcc 1
		.amdhsa_float_round_mode_32 0
		.amdhsa_float_round_mode_16_64 0
		.amdhsa_float_denorm_mode_32 3
		.amdhsa_float_denorm_mode_16_64 3
		.amdhsa_dx10_clamp 1
		.amdhsa_ieee_mode 1
		.amdhsa_fp16_overflow 0
		.amdhsa_workgroup_processor_mode 1
		.amdhsa_memory_ordered 1
		.amdhsa_forward_progress 0
		.amdhsa_shared_vgpr_count 0
		.amdhsa_exception_fp_ieee_invalid_op 0
		.amdhsa_exception_fp_denorm_src 0
		.amdhsa_exception_fp_ieee_div_zero 0
		.amdhsa_exception_fp_ieee_overflow 0
		.amdhsa_exception_fp_ieee_underflow 0
		.amdhsa_exception_fp_ieee_inexact 0
		.amdhsa_exception_int_div_zero 0
	.end_amdhsa_kernel
	.text
.Lfunc_end0:
	.size	bluestein_single_back_len3000_dim1_dp_op_CI_CI, .Lfunc_end0-bluestein_single_back_len3000_dim1_dp_op_CI_CI
                                        ; -- End function
	.section	.AMDGPU.csdata,"",@progbits
; Kernel info:
; codeLenInByte = 47540
; NumSgprs: 31
; NumVgprs: 256
; ScratchSize: 1528
; MemoryBound: 0
; FloatMode: 240
; IeeeMode: 1
; LDSByteSize: 48000 bytes/workgroup (compile time only)
; SGPRBlocks: 3
; VGPRBlocks: 31
; NumSGPRsForWavesPerEU: 31
; NumVGPRsForWavesPerEU: 256
; Occupancy: 2
; WaveLimiterHint : 1
; COMPUTE_PGM_RSRC2:SCRATCH_EN: 1
; COMPUTE_PGM_RSRC2:USER_SGPR: 15
; COMPUTE_PGM_RSRC2:TRAP_HANDLER: 0
; COMPUTE_PGM_RSRC2:TGID_X_EN: 1
; COMPUTE_PGM_RSRC2:TGID_Y_EN: 0
; COMPUTE_PGM_RSRC2:TGID_Z_EN: 0
; COMPUTE_PGM_RSRC2:TIDIG_COMP_CNT: 0
	.text
	.p2alignl 7, 3214868480
	.fill 96, 4, 3214868480
	.type	__hip_cuid_b36fe53cbcebb737,@object ; @__hip_cuid_b36fe53cbcebb737
	.section	.bss,"aw",@nobits
	.globl	__hip_cuid_b36fe53cbcebb737
__hip_cuid_b36fe53cbcebb737:
	.byte	0                               ; 0x0
	.size	__hip_cuid_b36fe53cbcebb737, 1

	.ident	"AMD clang version 19.0.0git (https://github.com/RadeonOpenCompute/llvm-project roc-6.4.0 25133 c7fe45cf4b819c5991fe208aaa96edf142730f1d)"
	.section	".note.GNU-stack","",@progbits
	.addrsig
	.addrsig_sym __hip_cuid_b36fe53cbcebb737
	.amdgpu_metadata
---
amdhsa.kernels:
  - .args:
      - .actual_access:  read_only
        .address_space:  global
        .offset:         0
        .size:           8
        .value_kind:     global_buffer
      - .actual_access:  read_only
        .address_space:  global
        .offset:         8
        .size:           8
        .value_kind:     global_buffer
      - .actual_access:  read_only
        .address_space:  global
        .offset:         16
        .size:           8
        .value_kind:     global_buffer
      - .actual_access:  read_only
        .address_space:  global
        .offset:         24
        .size:           8
        .value_kind:     global_buffer
      - .actual_access:  read_only
        .address_space:  global
        .offset:         32
        .size:           8
        .value_kind:     global_buffer
      - .offset:         40
        .size:           8
        .value_kind:     by_value
      - .address_space:  global
        .offset:         48
        .size:           8
        .value_kind:     global_buffer
      - .address_space:  global
        .offset:         56
        .size:           8
        .value_kind:     global_buffer
      - .address_space:  global
        .offset:         64
        .size:           8
        .value_kind:     global_buffer
      - .address_space:  global
        .offset:         72
        .size:           8
        .value_kind:     global_buffer
      - .offset:         80
        .size:           4
        .value_kind:     by_value
      - .address_space:  global
        .offset:         88
        .size:           8
        .value_kind:     global_buffer
      - .address_space:  global
        .offset:         96
        .size:           8
        .value_kind:     global_buffer
    .group_segment_fixed_size: 48000
    .kernarg_segment_align: 8
    .kernarg_segment_size: 104
    .language:       OpenCL C
    .language_version:
      - 2
      - 0
    .max_flat_workgroup_size: 100
    .name:           bluestein_single_back_len3000_dim1_dp_op_CI_CI
    .private_segment_fixed_size: 1528
    .sgpr_count:     31
    .sgpr_spill_count: 0
    .symbol:         bluestein_single_back_len3000_dim1_dp_op_CI_CI.kd
    .uniform_work_group_size: 1
    .uses_dynamic_stack: false
    .vgpr_count:     256
    .vgpr_spill_count: 381
    .wavefront_size: 32
    .workgroup_processor_mode: 1
amdhsa.target:   amdgcn-amd-amdhsa--gfx1100
amdhsa.version:
  - 1
  - 2
...

	.end_amdgpu_metadata
